;; amdgpu-corpus repo=vllm-project/vllm kind=triton arch=gfx950 opt=O3 lang=triton
	.amdgcn_target "amdgcn-amd-amdhsa--gfx950"
	.amdhsa_code_object_version 5
	.text
	.globl	_fwd_kernel                     ; -- Begin function _fwd_kernel
	.p2align	8
	.type	_fwd_kernel,@function
_fwd_kernel:                            ; @_fwd_kernel
.Lfunc_begin0:
	.cfi_sections .debug_frame
	.cfi_startproc
; %bb.124:
	.file	1 "/root/src/amdgpu-assembly/repos/vllm-project__vllm/triton_aot_kernels" "triton_prefill_attention_aot.py"
	.loc	1 8 0 prologue_end              ; triton_prefill_attention_aot.py:8:0
	s_load_dwordx2 s[2:3], s[0:1], 0x0
	s_load_dwordx8 s[4:11], s[0:1], 0x8
	s_load_dwordx4 s[12:15], s[0:1], 0x28
	s_waitcnt lgkmcnt(0)
	s_branch .LBB0_0
	.loc	1 0 0 is_stmt 0                 ; :0:0
.Ltmp0:
	.p2align	8
; %bb.125:
.LBB0_0:
	s_mov_b32 s20, s16
.Ltmp1:
	.loc	1 39 43 is_stmt 1               ; triton_prefill_attention_aot.py:39:43
	s_ashr_i32 s21, s16, 31
	s_lshl_b64 s[20:21], s[20:21], 2
	s_add_u32 s12, s12, s20
	s_addc_u32 s13, s13, s21
	s_load_dwordx2 s[22:23], s[0:1], 0x38
	.loc	1 40 57                         ; triton_prefill_attention_aot.py:40:57
	s_add_u32 s10, s10, s20
	.loc	1 39 32                         ; triton_prefill_attention_aot.py:39:32
	s_load_dword s16, s[12:13], 0x0
	.loc	1 40 57                         ; triton_prefill_attention_aot.py:40:57
	s_addc_u32 s11, s11, s21
	.loc	1 40 43 is_stmt 0               ; triton_prefill_attention_aot.py:40:43
	s_load_dword s9, s[10:11], 0x0
	.loc	1 139 16 is_stmt 1              ; triton_prefill_attention_aot.py:139:16
	v_readfirstlane_b32 s19, v0
	.loc	1 42 32                         ; triton_prefill_attention_aot.py:42:32
	s_lshl_b32 s33, s18, 6
	.loc	1 45 26                         ; triton_prefill_attention_aot.py:45:26
	s_bfe_u32 s47, s19, 0x20006
	v_and_b32_e32 v1, 63, v0
	.loc	1 47 33                         ; triton_prefill_attention_aot.py:47:33
	s_or_b32 s10, s47, s33
	.loc	1 50 21                         ; triton_prefill_attention_aot.py:50:21
	s_waitcnt lgkmcnt(0)
	s_mul_i32 s11, s23, s17
	.loc	1 60 32                         ; triton_prefill_attention_aot.py:60:32
	s_cmp_ge_i32 s10, s16
	.loc	1 50 10                         ; triton_prefill_attention_aot.py:50:10
	v_add_u32_e32 v2, s11, v1
	.loc	1 59 8                          ; triton_prefill_attention_aot.py:59:8
	s_cbranch_scc1 .LBB0_17
; %bb.1:
	.loc	1 49 40                         ; triton_prefill_attention_aot.py:49:40
	s_add_i32 s11, s9, s10
	.loc	1 49 59 is_stmt 0               ; triton_prefill_attention_aot.py:49:59
	s_mul_i32 s11, s11, s22
	.loc	1 51 10 is_stmt 1               ; triton_prefill_attention_aot.py:51:10
	v_add_u32_e32 v4, s11, v2
	.loc	1 59 12                         ; triton_prefill_attention_aot.py:59:12
	v_ashrrev_i32_e32 v5, 31, v4
	v_lshl_add_u64 v[4:5], v[4:5], 1, s[2:3]
	.loc	1 59 8 is_stmt 0                ; triton_prefill_attention_aot.py:59:8
	global_load_ushort v3, v[4:5], off
	.loc	1 47 33 is_stmt 1               ; triton_prefill_attention_aot.py:47:33
	s_or_b32 s11, s10, 4
	.loc	1 60 32                         ; triton_prefill_attention_aot.py:60:32
	s_cmp_ge_i32 s11, s16
	.loc	1 59 8                          ; triton_prefill_attention_aot.py:59:8
	s_cbranch_scc0 .LBB0_18
.LBB0_2:
	.loc	1 0 8 is_stmt 0                 ; triton_prefill_attention_aot.py:0:8
	v_mov_b32_e32 v4, 0
	.loc	1 47 33 is_stmt 1               ; triton_prefill_attention_aot.py:47:33
	s_or_b32 s11, s10, 8
	.loc	1 60 32                         ; triton_prefill_attention_aot.py:60:32
	s_cmp_ge_i32 s11, s16
	.loc	1 59 8                          ; triton_prefill_attention_aot.py:59:8
	s_cbranch_scc0 .LBB0_19
.LBB0_3:
	.loc	1 0 8 is_stmt 0                 ; triton_prefill_attention_aot.py:0:8
	v_mov_b32_e32 v5, 0
	.loc	1 47 33 is_stmt 1               ; triton_prefill_attention_aot.py:47:33
	s_or_b32 s11, s10, 12
	.loc	1 60 32                         ; triton_prefill_attention_aot.py:60:32
	s_cmp_ge_i32 s11, s16
	.loc	1 59 8                          ; triton_prefill_attention_aot.py:59:8
	s_cbranch_scc0 .LBB0_20
.LBB0_4:
	.loc	1 0 8 is_stmt 0                 ; triton_prefill_attention_aot.py:0:8
	v_mov_b32_e32 v6, 0
	.loc	1 47 33 is_stmt 1               ; triton_prefill_attention_aot.py:47:33
	s_or_b32 s11, s10, 16
	.loc	1 60 32                         ; triton_prefill_attention_aot.py:60:32
	s_cmp_ge_i32 s11, s16
	.loc	1 59 8                          ; triton_prefill_attention_aot.py:59:8
	s_cbranch_scc0 .LBB0_21
.LBB0_5:
	.loc	1 0 8 is_stmt 0                 ; triton_prefill_attention_aot.py:0:8
	v_mov_b32_e32 v7, 0
	.loc	1 47 33 is_stmt 1               ; triton_prefill_attention_aot.py:47:33
	s_or_b32 s11, s10, 20
	.loc	1 60 32                         ; triton_prefill_attention_aot.py:60:32
	s_cmp_ge_i32 s11, s16
	.loc	1 59 8                          ; triton_prefill_attention_aot.py:59:8
	s_cbranch_scc0 .LBB0_22
.LBB0_6:
	.loc	1 0 8 is_stmt 0                 ; triton_prefill_attention_aot.py:0:8
	v_mov_b32_e32 v8, 0
	.loc	1 47 33 is_stmt 1               ; triton_prefill_attention_aot.py:47:33
	s_or_b32 s11, s10, 24
	.loc	1 60 32                         ; triton_prefill_attention_aot.py:60:32
	s_cmp_ge_i32 s11, s16
	.loc	1 59 8                          ; triton_prefill_attention_aot.py:59:8
	s_cbranch_scc0 .LBB0_23
.LBB0_7:
	.loc	1 0 8 is_stmt 0                 ; triton_prefill_attention_aot.py:0:8
	v_mov_b32_e32 v9, 0
	.loc	1 47 33 is_stmt 1               ; triton_prefill_attention_aot.py:47:33
	s_or_b32 s11, s10, 28
	.loc	1 60 32                         ; triton_prefill_attention_aot.py:60:32
	s_cmp_ge_i32 s11, s16
	.loc	1 59 8                          ; triton_prefill_attention_aot.py:59:8
	s_cbranch_scc0 .LBB0_24
.LBB0_8:
	.loc	1 0 8 is_stmt 0                 ; triton_prefill_attention_aot.py:0:8
	v_mov_b32_e32 v10, 0
	.loc	1 47 33 is_stmt 1               ; triton_prefill_attention_aot.py:47:33
	s_or_b32 s11, s10, 32
	.loc	1 60 32                         ; triton_prefill_attention_aot.py:60:32
	s_cmp_ge_i32 s11, s16
	.loc	1 59 8                          ; triton_prefill_attention_aot.py:59:8
	s_cbranch_scc0 .LBB0_25
.LBB0_9:
	.loc	1 0 8 is_stmt 0                 ; triton_prefill_attention_aot.py:0:8
	v_mov_b32_e32 v11, 0
	.loc	1 47 33 is_stmt 1               ; triton_prefill_attention_aot.py:47:33
	s_or_b32 s11, s10, 36
	.loc	1 60 32                         ; triton_prefill_attention_aot.py:60:32
	s_cmp_ge_i32 s11, s16
	.loc	1 59 8                          ; triton_prefill_attention_aot.py:59:8
	s_cbranch_scc0 .LBB0_26
.LBB0_10:
	.loc	1 0 8 is_stmt 0                 ; triton_prefill_attention_aot.py:0:8
	v_mov_b32_e32 v12, 0
	.loc	1 47 33 is_stmt 1               ; triton_prefill_attention_aot.py:47:33
	s_or_b32 s11, s10, 40
	.loc	1 60 32                         ; triton_prefill_attention_aot.py:60:32
	s_cmp_ge_i32 s11, s16
	.loc	1 59 8                          ; triton_prefill_attention_aot.py:59:8
	s_cbranch_scc0 .LBB0_27
.LBB0_11:
	.loc	1 0 8 is_stmt 0                 ; triton_prefill_attention_aot.py:0:8
	v_mov_b32_e32 v13, 0
	.loc	1 47 33 is_stmt 1               ; triton_prefill_attention_aot.py:47:33
	s_or_b32 s11, s10, 44
	.loc	1 60 32                         ; triton_prefill_attention_aot.py:60:32
	s_cmp_ge_i32 s11, s16
	.loc	1 59 8                          ; triton_prefill_attention_aot.py:59:8
	s_cbranch_scc0 .LBB0_28
.LBB0_12:
	.loc	1 0 8 is_stmt 0                 ; triton_prefill_attention_aot.py:0:8
	v_mov_b32_e32 v14, 0
	.loc	1 47 33 is_stmt 1               ; triton_prefill_attention_aot.py:47:33
	s_or_b32 s11, s10, 48
	.loc	1 60 32                         ; triton_prefill_attention_aot.py:60:32
	s_cmp_ge_i32 s11, s16
	.loc	1 59 8                          ; triton_prefill_attention_aot.py:59:8
	s_cbranch_scc0 .LBB0_29
.LBB0_13:
	.loc	1 0 8 is_stmt 0                 ; triton_prefill_attention_aot.py:0:8
	v_mov_b32_e32 v15, 0
	.loc	1 47 33 is_stmt 1               ; triton_prefill_attention_aot.py:47:33
	s_or_b32 s11, s10, 52
	.loc	1 60 32                         ; triton_prefill_attention_aot.py:60:32
	s_cmp_ge_i32 s11, s16
	.loc	1 59 8                          ; triton_prefill_attention_aot.py:59:8
	s_cbranch_scc0 .LBB0_30
.LBB0_14:
	.loc	1 0 8 is_stmt 0                 ; triton_prefill_attention_aot.py:0:8
	v_mov_b32_e32 v16, 0
	.loc	1 47 33 is_stmt 1               ; triton_prefill_attention_aot.py:47:33
	s_or_b32 s11, s10, 56
	.loc	1 60 32                         ; triton_prefill_attention_aot.py:60:32
	s_cmp_ge_i32 s11, s16
	.loc	1 59 8                          ; triton_prefill_attention_aot.py:59:8
	s_cbranch_scc0 .LBB0_31
.LBB0_15:
	.loc	1 0 8 is_stmt 0                 ; triton_prefill_attention_aot.py:0:8
	v_mov_b32_e32 v17, 0
	s_and_b32 s11, s19, 0xc0
	.loc	1 47 33 is_stmt 1               ; triton_prefill_attention_aot.py:47:33
	s_or_b32 s10, s10, 60
	.loc	1 60 32                         ; triton_prefill_attention_aot.py:60:32
	s_cmp_ge_i32 s10, s16
	.loc	1 59 8                          ; triton_prefill_attention_aot.py:59:8
	s_cbranch_scc0 .LBB0_32
.LBB0_16:
	.loc	1 0 8 is_stmt 0                 ; triton_prefill_attention_aot.py:0:8
	v_mov_b32_e32 v2, 0
	.loc	1 59 8                          ; triton_prefill_attention_aot.py:59:8
	s_branch .LBB0_33
.LBB0_17:
	.loc	1 0 8                           ; triton_prefill_attention_aot.py:0:8
	v_mov_b32_e32 v3, 0
	.loc	1 47 33 is_stmt 1               ; triton_prefill_attention_aot.py:47:33
	s_or_b32 s11, s10, 4
	.loc	1 60 32                         ; triton_prefill_attention_aot.py:60:32
	s_cmp_ge_i32 s11, s16
	.loc	1 59 8                          ; triton_prefill_attention_aot.py:59:8
	s_cbranch_scc1 .LBB0_2
.LBB0_18:
	.loc	1 49 40                         ; triton_prefill_attention_aot.py:49:40
	s_add_i32 s11, s11, s9
	.loc	1 49 59 is_stmt 0               ; triton_prefill_attention_aot.py:49:59
	s_mul_i32 s11, s11, s22
	.loc	1 51 10 is_stmt 1               ; triton_prefill_attention_aot.py:51:10
	v_add_u32_e32 v4, s11, v2
	.loc	1 59 12                         ; triton_prefill_attention_aot.py:59:12
	v_ashrrev_i32_e32 v5, 31, v4
	v_lshl_add_u64 v[4:5], v[4:5], 1, s[2:3]
	.loc	1 59 8 is_stmt 0                ; triton_prefill_attention_aot.py:59:8
	global_load_ushort v4, v[4:5], off
	.loc	1 47 33 is_stmt 1               ; triton_prefill_attention_aot.py:47:33
	s_or_b32 s11, s10, 8
	.loc	1 60 32                         ; triton_prefill_attention_aot.py:60:32
	s_cmp_ge_i32 s11, s16
	.loc	1 59 8                          ; triton_prefill_attention_aot.py:59:8
	s_cbranch_scc1 .LBB0_3
.LBB0_19:
	.loc	1 49 40                         ; triton_prefill_attention_aot.py:49:40
	s_add_i32 s11, s11, s9
	.loc	1 49 59 is_stmt 0               ; triton_prefill_attention_aot.py:49:59
	s_mul_i32 s11, s11, s22
	.loc	1 51 10 is_stmt 1               ; triton_prefill_attention_aot.py:51:10
	v_add_u32_e32 v6, s11, v2
	.loc	1 59 12                         ; triton_prefill_attention_aot.py:59:12
	v_ashrrev_i32_e32 v7, 31, v6
	v_lshl_add_u64 v[6:7], v[6:7], 1, s[2:3]
	.loc	1 59 8 is_stmt 0                ; triton_prefill_attention_aot.py:59:8
	global_load_ushort v5, v[6:7], off
	.loc	1 47 33 is_stmt 1               ; triton_prefill_attention_aot.py:47:33
	s_or_b32 s11, s10, 12
	.loc	1 60 32                         ; triton_prefill_attention_aot.py:60:32
	s_cmp_ge_i32 s11, s16
	.loc	1 59 8                          ; triton_prefill_attention_aot.py:59:8
	s_cbranch_scc1 .LBB0_4
.LBB0_20:
	.loc	1 49 40                         ; triton_prefill_attention_aot.py:49:40
	s_add_i32 s11, s11, s9
	.loc	1 49 59 is_stmt 0               ; triton_prefill_attention_aot.py:49:59
	s_mul_i32 s11, s11, s22
	.loc	1 51 10 is_stmt 1               ; triton_prefill_attention_aot.py:51:10
	v_add_u32_e32 v6, s11, v2
	.loc	1 59 12                         ; triton_prefill_attention_aot.py:59:12
	v_ashrrev_i32_e32 v7, 31, v6
	v_lshl_add_u64 v[6:7], v[6:7], 1, s[2:3]
	.loc	1 59 8 is_stmt 0                ; triton_prefill_attention_aot.py:59:8
	global_load_ushort v6, v[6:7], off
	.loc	1 47 33 is_stmt 1               ; triton_prefill_attention_aot.py:47:33
	s_or_b32 s11, s10, 16
	.loc	1 60 32                         ; triton_prefill_attention_aot.py:60:32
	s_cmp_ge_i32 s11, s16
	.loc	1 59 8                          ; triton_prefill_attention_aot.py:59:8
	s_cbranch_scc1 .LBB0_5
.LBB0_21:
	.loc	1 49 40                         ; triton_prefill_attention_aot.py:49:40
	s_add_i32 s11, s11, s9
	.loc	1 49 59 is_stmt 0               ; triton_prefill_attention_aot.py:49:59
	s_mul_i32 s11, s11, s22
	.loc	1 51 10 is_stmt 1               ; triton_prefill_attention_aot.py:51:10
	v_add_u32_e32 v8, s11, v2
	.loc	1 59 12                         ; triton_prefill_attention_aot.py:59:12
	v_ashrrev_i32_e32 v9, 31, v8
	v_lshl_add_u64 v[8:9], v[8:9], 1, s[2:3]
	.loc	1 59 8 is_stmt 0                ; triton_prefill_attention_aot.py:59:8
	global_load_ushort v7, v[8:9], off
	.loc	1 47 33 is_stmt 1               ; triton_prefill_attention_aot.py:47:33
	s_or_b32 s11, s10, 20
	.loc	1 60 32                         ; triton_prefill_attention_aot.py:60:32
	s_cmp_ge_i32 s11, s16
	.loc	1 59 8                          ; triton_prefill_attention_aot.py:59:8
	s_cbranch_scc1 .LBB0_6
.LBB0_22:
	.loc	1 49 40                         ; triton_prefill_attention_aot.py:49:40
	s_add_i32 s11, s11, s9
	.loc	1 49 59 is_stmt 0               ; triton_prefill_attention_aot.py:49:59
	s_mul_i32 s11, s11, s22
	.loc	1 51 10 is_stmt 1               ; triton_prefill_attention_aot.py:51:10
	v_add_u32_e32 v8, s11, v2
	.loc	1 59 12                         ; triton_prefill_attention_aot.py:59:12
	v_ashrrev_i32_e32 v9, 31, v8
	v_lshl_add_u64 v[8:9], v[8:9], 1, s[2:3]
	.loc	1 59 8 is_stmt 0                ; triton_prefill_attention_aot.py:59:8
	global_load_ushort v8, v[8:9], off
	.loc	1 47 33 is_stmt 1               ; triton_prefill_attention_aot.py:47:33
	s_or_b32 s11, s10, 24
	.loc	1 60 32                         ; triton_prefill_attention_aot.py:60:32
	s_cmp_ge_i32 s11, s16
	.loc	1 59 8                          ; triton_prefill_attention_aot.py:59:8
	s_cbranch_scc1 .LBB0_7
.LBB0_23:
	.loc	1 49 40                         ; triton_prefill_attention_aot.py:49:40
	s_add_i32 s11, s11, s9
	.loc	1 49 59 is_stmt 0               ; triton_prefill_attention_aot.py:49:59
	s_mul_i32 s11, s11, s22
	.loc	1 51 10 is_stmt 1               ; triton_prefill_attention_aot.py:51:10
	v_add_u32_e32 v10, s11, v2
	.loc	1 59 12                         ; triton_prefill_attention_aot.py:59:12
	v_ashrrev_i32_e32 v11, 31, v10
	v_lshl_add_u64 v[10:11], v[10:11], 1, s[2:3]
	.loc	1 59 8 is_stmt 0                ; triton_prefill_attention_aot.py:59:8
	global_load_ushort v9, v[10:11], off
	.loc	1 47 33 is_stmt 1               ; triton_prefill_attention_aot.py:47:33
	s_or_b32 s11, s10, 28
	.loc	1 60 32                         ; triton_prefill_attention_aot.py:60:32
	s_cmp_ge_i32 s11, s16
	.loc	1 59 8                          ; triton_prefill_attention_aot.py:59:8
	s_cbranch_scc1 .LBB0_8
.LBB0_24:
	.loc	1 49 40                         ; triton_prefill_attention_aot.py:49:40
	s_add_i32 s11, s11, s9
	.loc	1 49 59 is_stmt 0               ; triton_prefill_attention_aot.py:49:59
	s_mul_i32 s11, s11, s22
	.loc	1 51 10 is_stmt 1               ; triton_prefill_attention_aot.py:51:10
	v_add_u32_e32 v10, s11, v2
	.loc	1 59 12                         ; triton_prefill_attention_aot.py:59:12
	v_ashrrev_i32_e32 v11, 31, v10
	v_lshl_add_u64 v[10:11], v[10:11], 1, s[2:3]
	.loc	1 59 8 is_stmt 0                ; triton_prefill_attention_aot.py:59:8
	global_load_ushort v10, v[10:11], off
	.loc	1 47 33 is_stmt 1               ; triton_prefill_attention_aot.py:47:33
	s_or_b32 s11, s10, 32
	.loc	1 60 32                         ; triton_prefill_attention_aot.py:60:32
	s_cmp_ge_i32 s11, s16
	.loc	1 59 8                          ; triton_prefill_attention_aot.py:59:8
	s_cbranch_scc1 .LBB0_9
.LBB0_25:
	.loc	1 49 40                         ; triton_prefill_attention_aot.py:49:40
	s_add_i32 s11, s11, s9
	.loc	1 49 59 is_stmt 0               ; triton_prefill_attention_aot.py:49:59
	s_mul_i32 s11, s11, s22
	.loc	1 51 10 is_stmt 1               ; triton_prefill_attention_aot.py:51:10
	v_add_u32_e32 v12, s11, v2
	.loc	1 59 12                         ; triton_prefill_attention_aot.py:59:12
	v_ashrrev_i32_e32 v13, 31, v12
	v_lshl_add_u64 v[12:13], v[12:13], 1, s[2:3]
	.loc	1 59 8 is_stmt 0                ; triton_prefill_attention_aot.py:59:8
	global_load_ushort v11, v[12:13], off
	.loc	1 47 33 is_stmt 1               ; triton_prefill_attention_aot.py:47:33
	s_or_b32 s11, s10, 36
	.loc	1 60 32                         ; triton_prefill_attention_aot.py:60:32
	s_cmp_ge_i32 s11, s16
	.loc	1 59 8                          ; triton_prefill_attention_aot.py:59:8
	s_cbranch_scc1 .LBB0_10
.LBB0_26:
	.loc	1 49 40                         ; triton_prefill_attention_aot.py:49:40
	s_add_i32 s11, s11, s9
	.loc	1 49 59 is_stmt 0               ; triton_prefill_attention_aot.py:49:59
	s_mul_i32 s11, s11, s22
	.loc	1 51 10 is_stmt 1               ; triton_prefill_attention_aot.py:51:10
	v_add_u32_e32 v12, s11, v2
	.loc	1 59 12                         ; triton_prefill_attention_aot.py:59:12
	v_ashrrev_i32_e32 v13, 31, v12
	v_lshl_add_u64 v[12:13], v[12:13], 1, s[2:3]
	.loc	1 59 8 is_stmt 0                ; triton_prefill_attention_aot.py:59:8
	global_load_ushort v12, v[12:13], off
	.loc	1 47 33 is_stmt 1               ; triton_prefill_attention_aot.py:47:33
	s_or_b32 s11, s10, 40
	.loc	1 60 32                         ; triton_prefill_attention_aot.py:60:32
	s_cmp_ge_i32 s11, s16
	.loc	1 59 8                          ; triton_prefill_attention_aot.py:59:8
	s_cbranch_scc1 .LBB0_11
.LBB0_27:
	.loc	1 49 40                         ; triton_prefill_attention_aot.py:49:40
	s_add_i32 s11, s11, s9
	.loc	1 49 59 is_stmt 0               ; triton_prefill_attention_aot.py:49:59
	s_mul_i32 s11, s11, s22
	.loc	1 51 10 is_stmt 1               ; triton_prefill_attention_aot.py:51:10
	v_add_u32_e32 v14, s11, v2
	.loc	1 59 12                         ; triton_prefill_attention_aot.py:59:12
	v_ashrrev_i32_e32 v15, 31, v14
	v_lshl_add_u64 v[14:15], v[14:15], 1, s[2:3]
	.loc	1 59 8 is_stmt 0                ; triton_prefill_attention_aot.py:59:8
	global_load_ushort v13, v[14:15], off
	.loc	1 47 33 is_stmt 1               ; triton_prefill_attention_aot.py:47:33
	s_or_b32 s11, s10, 44
	.loc	1 60 32                         ; triton_prefill_attention_aot.py:60:32
	s_cmp_ge_i32 s11, s16
	.loc	1 59 8                          ; triton_prefill_attention_aot.py:59:8
	s_cbranch_scc1 .LBB0_12
.LBB0_28:
	.loc	1 49 40                         ; triton_prefill_attention_aot.py:49:40
	s_add_i32 s11, s11, s9
	.loc	1 49 59 is_stmt 0               ; triton_prefill_attention_aot.py:49:59
	s_mul_i32 s11, s11, s22
	.loc	1 51 10 is_stmt 1               ; triton_prefill_attention_aot.py:51:10
	v_add_u32_e32 v14, s11, v2
	.loc	1 59 12                         ; triton_prefill_attention_aot.py:59:12
	v_ashrrev_i32_e32 v15, 31, v14
	v_lshl_add_u64 v[14:15], v[14:15], 1, s[2:3]
	.loc	1 59 8 is_stmt 0                ; triton_prefill_attention_aot.py:59:8
	global_load_ushort v14, v[14:15], off
	.loc	1 47 33 is_stmt 1               ; triton_prefill_attention_aot.py:47:33
	s_or_b32 s11, s10, 48
	.loc	1 60 32                         ; triton_prefill_attention_aot.py:60:32
	s_cmp_ge_i32 s11, s16
	.loc	1 59 8                          ; triton_prefill_attention_aot.py:59:8
	s_cbranch_scc1 .LBB0_13
.LBB0_29:
	.loc	1 49 40                         ; triton_prefill_attention_aot.py:49:40
	s_add_i32 s11, s11, s9
	.loc	1 49 59 is_stmt 0               ; triton_prefill_attention_aot.py:49:59
	s_mul_i32 s11, s11, s22
	.loc	1 51 10 is_stmt 1               ; triton_prefill_attention_aot.py:51:10
	v_add_u32_e32 v16, s11, v2
	.loc	1 59 12                         ; triton_prefill_attention_aot.py:59:12
	v_ashrrev_i32_e32 v17, 31, v16
	v_lshl_add_u64 v[16:17], v[16:17], 1, s[2:3]
	.loc	1 59 8 is_stmt 0                ; triton_prefill_attention_aot.py:59:8
	global_load_ushort v15, v[16:17], off
	.loc	1 47 33 is_stmt 1               ; triton_prefill_attention_aot.py:47:33
	s_or_b32 s11, s10, 52
	.loc	1 60 32                         ; triton_prefill_attention_aot.py:60:32
	s_cmp_ge_i32 s11, s16
	.loc	1 59 8                          ; triton_prefill_attention_aot.py:59:8
	s_cbranch_scc1 .LBB0_14
.LBB0_30:
	.loc	1 49 40                         ; triton_prefill_attention_aot.py:49:40
	s_add_i32 s11, s11, s9
	.loc	1 49 59 is_stmt 0               ; triton_prefill_attention_aot.py:49:59
	s_mul_i32 s11, s11, s22
	.loc	1 51 10 is_stmt 1               ; triton_prefill_attention_aot.py:51:10
	v_add_u32_e32 v16, s11, v2
	.loc	1 59 12                         ; triton_prefill_attention_aot.py:59:12
	v_ashrrev_i32_e32 v17, 31, v16
	v_lshl_add_u64 v[16:17], v[16:17], 1, s[2:3]
	.loc	1 59 8 is_stmt 0                ; triton_prefill_attention_aot.py:59:8
	global_load_ushort v16, v[16:17], off
	.loc	1 47 33 is_stmt 1               ; triton_prefill_attention_aot.py:47:33
	s_or_b32 s11, s10, 56
	.loc	1 60 32                         ; triton_prefill_attention_aot.py:60:32
	s_cmp_ge_i32 s11, s16
	.loc	1 59 8                          ; triton_prefill_attention_aot.py:59:8
	s_cbranch_scc1 .LBB0_15
.LBB0_31:
	.loc	1 49 40                         ; triton_prefill_attention_aot.py:49:40
	s_add_i32 s11, s11, s9
	.loc	1 49 59 is_stmt 0               ; triton_prefill_attention_aot.py:49:59
	s_mul_i32 s11, s11, s22
	.loc	1 51 10 is_stmt 1               ; triton_prefill_attention_aot.py:51:10
	v_add_u32_e32 v18, s11, v2
	.loc	1 59 12                         ; triton_prefill_attention_aot.py:59:12
	v_ashrrev_i32_e32 v19, 31, v18
	v_lshl_add_u64 v[18:19], v[18:19], 1, s[2:3]
	.loc	1 59 8 is_stmt 0                ; triton_prefill_attention_aot.py:59:8
	global_load_ushort v17, v[18:19], off
	s_and_b32 s11, s19, 0xc0
	.loc	1 47 33 is_stmt 1               ; triton_prefill_attention_aot.py:47:33
	s_or_b32 s10, s10, 60
	.loc	1 60 32                         ; triton_prefill_attention_aot.py:60:32
	s_cmp_ge_i32 s10, s16
	.loc	1 59 8                          ; triton_prefill_attention_aot.py:59:8
	s_cbranch_scc1 .LBB0_16
.LBB0_32:
	.loc	1 49 40                         ; triton_prefill_attention_aot.py:49:40
	s_add_i32 s10, s10, s9
	.loc	1 49 59 is_stmt 0               ; triton_prefill_attention_aot.py:49:59
	s_mul_i32 s10, s10, s22
	.loc	1 51 10 is_stmt 1               ; triton_prefill_attention_aot.py:51:10
	v_add_u32_e32 v18, s10, v2
	.loc	1 59 12                         ; triton_prefill_attention_aot.py:59:12
	v_ashrrev_i32_e32 v19, 31, v18
	v_lshl_add_u64 v[18:19], v[18:19], 1, s[2:3]
	.loc	1 59 8 is_stmt 0                ; triton_prefill_attention_aot.py:59:8
	global_load_ushort v2, v[18:19], off
.LBB0_33:
	.loc	1 45 26 is_stmt 1               ; triton_prefill_attention_aot.py:45:26
	s_and_b32 s48, s19, 0x80
	s_bfe_i32 s10, s19, 0x10007
	v_or_b32_e32 v18, s11, v1
	s_cmp_eq_u32 s48, 0
	s_cselect_b64 s[2:3], -1, 0
	.loc	1 59 8                          ; triton_prefill_attention_aot.py:59:8
	v_lshlrev_b32_e32 v21, 1, v18
	s_and_b32 s10, s10, 0x110
	v_mov_b32_e32 v19, 0xfe
	v_bitop3_b32 v19, v21, s10, v19 bitop3:0x6c
	v_add_u32_e32 v115, 0, v19
	.loc	1 45 26                         ; triton_prefill_attention_aot.py:45:26
	s_and_b32 s46, s19, 64
	.loc	1 59 8                          ; triton_prefill_attention_aot.py:59:8
	s_waitcnt vmcnt(0)
	ds_write_b16 v115, v3
	ds_write_b16 v115, v7 offset:2048
	ds_write_b16 v115, v11 offset:4096
	;; [unrolled: 1-line block ×3, first 2 shown]
	v_xor_b32_e32 v3, 32, v19
	v_add_u32_e32 v116, 0, v3
	v_xor_b32_e32 v3, 64, v19
	.loc	1 72 44                         ; triton_prefill_attention_aot.py:72:44
	s_cmp_lt_i32 s33, s16
	.loc	1 45 26                         ; triton_prefill_attention_aot.py:45:26
	v_and_b32_e32 v113, 31, v0
	.loc	1 59 8                          ; triton_prefill_attention_aot.py:59:8
	v_add_u32_e32 v117, 0, v3
	v_xor_b32_e32 v3, 0x60, v19
	.loc	1 82 31                         ; triton_prefill_attention_aot.py:82:31
	s_cselect_b32 s49, s16, 0
	.loc	1 59 8                          ; triton_prefill_attention_aot.py:59:8
	v_add_u32_e32 v118, 0, v3
	.loc	1 84 53                         ; triton_prefill_attention_aot.py:84:53
	s_cmp_gt_i32 s49, 0
	v_lshlrev_b32_e32 v114, 2, v113
	.loc	1 59 8                          ; triton_prefill_attention_aot.py:59:8
	ds_write_b16 v116, v4 offset:512
	ds_write_b16 v116, v8 offset:2560
	;; [unrolled: 1-line block ×12, first 2 shown]
	s_waitcnt lgkmcnt(0)
	s_barrier
	.loc	1 84 53                         ; triton_prefill_attention_aot.py:84:53
	s_cbranch_scc1 .LBB0_35
; %bb.34:                               ; %.._crit_edge_crit_edge
	.loc	1 139 16                        ; triton_prefill_attention_aot.py:139:16
	s_lshl_b32 s12, s46, 1
	s_mov_b64 s[10:11], 0
	v_mov_b32_e32 v19, s12
	s_branch .LBB0_36
.LBB0_35:
	.loc	1 0 16 is_stmt 0                ; triton_prefill_attention_aot.py:0:16
	s_mov_b64 s[10:11], -1
                                        ; implicit-def: $vgpr19
.LBB0_36:                               ; %Flow
	v_and_b32_e32 v112, 32, v0
	v_mov_b32_e32 v20, 0
	s_andn2_b64 vcc, exec, s[10:11]
	v_mov_b32_e32 v17, 0
	v_mov_b32_e32 v16, 0
	;; [unrolled: 1-line block ×16, first 2 shown]
	s_cbranch_vccnz .LBB0_121
; %bb.37:                               ; %.lr.ph
	s_load_dwordx4 s[20:23], s[0:1], 0x40
	v_and_b32_e32 v19, 0xfe, v21
	.loc	1 45 26 is_stmt 1               ; triton_prefill_attention_aot.py:45:26
	v_cmp_eq_u32_e32 vcc, 0, v112
	s_lshl_b32 s51, s46, 1
	.loc	1 59 8                          ; triton_prefill_attention_aot.py:59:8
	s_mov_b32 s50, 0
	.loc	1 53 30                         ; triton_prefill_attention_aot.py:53:30
	s_waitcnt lgkmcnt(0)
	s_mul_i32 s10, s47, s20
	.loc	1 53 57 is_stmt 0               ; triton_prefill_attention_aot.py:53:57
	s_mul_i32 s11, s21, s17
	.loc	1 53 69                         ; triton_prefill_attention_aot.py:53:69
	s_add_i32 s10, s10, s11
	v_add_u32_e32 v2, s10, v1
	v_mad_u64_u32 v[8:9], s[10:11], s20, 12, v[2:3]
	v_mad_u64_u32 v[12:13], s[10:11], s20, 20, v[2:3]
	;; [unrolled: 1-line block ×11, first 2 shown]
	.loc	1 54 30 is_stmt 1               ; triton_prefill_attention_aot.py:54:30
	s_mul_i32 s10, s47, s22
	.loc	1 54 57 is_stmt 0               ; triton_prefill_attention_aot.py:54:57
	s_mul_i32 s11, s23, s17
	.loc	1 54 69                         ; triton_prefill_attention_aot.py:54:69
	s_add_i32 s10, s10, s11
	v_add_u32_e32 v36, s10, v1
	v_mad_u64_u32 v[38:39], s[10:11], s22, 12, v[36:37]
	v_mad_u64_u32 v[40:41], s[10:11], s22, 20, v[36:37]
	;; [unrolled: 1-line block ×6, first 2 shown]
	.loc	1 59 8 is_stmt 1                ; triton_prefill_attention_aot.py:59:8
	v_lshlrev_b32_e32 v37, 3, v0
	v_and_b32_e32 v39, 0x70, v37
	v_lshrrev_b32_e32 v41, 1, v112
	s_lshl_b32 s10, s46, 6
	v_bitop3_b32 v3, s10, v39, v41 bitop3:0xf6
	.loc	1 54 69                         ; triton_prefill_attention_aot.py:54:69
	v_mad_u64_u32 v[102:103], s[10:11], s22, 44, v[36:37]
	.loc	1 59 8                          ; triton_prefill_attention_aot.py:59:8
	v_lshlrev_b32_e32 v1, 7, v113
	s_movk_i32 s10, 0x60
	v_or_b32_e32 v5, v3, v1
	v_bitop3_b32 v3, v3, s10, v1 bitop3:0x36
	.loc	1 53 69                         ; triton_prefill_attention_aot.py:53:69
	v_lshl_add_u32 v4, s20, 2, v2
	v_lshl_add_u32 v6, s20, 3, v2
	v_lshl_add_u32 v10, s20, 4, v2
	v_lshl_add_u32 v20, s20, 5, v2
	.loc	1 59 8                          ; triton_prefill_attention_aot.py:59:8
	v_add_u32_e32 v7, 0, v5
	v_xad_u32 v9, v5, 32, 0
	v_xad_u32 v5, v5, 64, 0
	v_add_u32_e32 v3, 0, v3
	ds_read_b128 v[146:149], v7
	ds_read_b128 v[150:153], v9
	;; [unrolled: 1-line block ×4, first 2 shown]
	.loc	1 64 17                         ; triton_prefill_attention_aot.py:64:17
	v_ashrrev_i32_e32 v3, 31, v2
	v_ashrrev_i32_e32 v5, 31, v4
	;; [unrolled: 1-line block ×16, first 2 shown]
	v_lshl_add_u64 v[50:51], v[2:3], 1, s[4:5]
	v_lshl_add_u64 v[52:53], v[4:5], 1, s[4:5]
	;; [unrolled: 1-line block ×16, first 2 shown]
	v_and_b32_e32 v3, 24, v37
	v_bfe_i32 v5, v0, 3, 1
	s_movk_i32 s4, 0x108
	v_mov_b32_e32 v2, 0x210
	v_lshlrev_b32_e32 v4, 5, v0
	v_bitop3_b32 v5, v5, v3, s4 bitop3:0x6c
	s_movk_i32 s4, 0x180
	v_bitop3_b32 v20, v1, v41, v39 bitop3:0x36
	v_lshlrev_b32_e32 v1, 1, v113
	v_cndmask_b32_e64 v2, v2, 0, vcc
	v_and_b32_e32 v6, 0x48, v18
	v_and_or_b32 v3, v4, s4, v3
	v_bitop3_b32 v3, v6, v3, v2 bitop3:0x36
	v_xor_b32_e32 v18, v2, v1
	v_bitop3_b32 v21, s46, v2, v1 bitop3:0xf6
	v_and_b32_e32 v1, 0x80, v4
	v_lshlrev_b32_e32 v0, 1, v0
	v_xor_b32_e32 v2, v5, v2
	s_lshr_b32 s4, s48, 1
	v_and_b32_e32 v4, 32, v0
	v_or3_b32 v1, v1, v2, s4
	v_or_b32_e32 v22, v1, v4
	v_or_b32_e32 v24, v3, v4
	v_bitop3_b32 v25, v3, 32, v0 bitop3:0x34
	.loc	1 54 69                         ; triton_prefill_attention_aot.py:54:69
	v_mad_u64_u32 v[2:3], s[4:5], s22, 48, v[36:37]
	v_mad_u64_u32 v[4:5], s[4:5], s22, 52, v[36:37]
	s_and_b64 s[2:3], s[2:3], exec
	v_mad_u64_u32 v[6:7], s[4:5], s22, 56, v[36:37]
	v_mad_u64_u32 v[8:9], s[4:5], s22, 60, v[36:37]
	v_lshl_add_u32 v16, s22, 5, v36
	.loc	1 65 17                         ; triton_prefill_attention_aot.py:65:17
	v_ashrrev_i32_e32 v3, 31, v2
	v_ashrrev_i32_e32 v5, 31, v4
	s_cselect_b32 s2, 0, 0x108
	.loc	1 54 69                         ; triton_prefill_attention_aot.py:54:69
	v_lshl_add_u32 v10, s22, 2, v36
	v_lshl_add_u32 v12, s22, 3, v36
	;; [unrolled: 1-line block ×3, first 2 shown]
	.loc	1 65 17                         ; triton_prefill_attention_aot.py:65:17
	v_ashrrev_i32_e32 v17, 31, v16
	v_lshl_add_u64 v[104:105], v[2:3], 1, s[6:7]
	v_lshl_add_u64 v[106:107], v[4:5], 1, s[6:7]
	v_ashrrev_i32_e32 v7, 31, v6
	v_ashrrev_i32_e32 v9, 31, v8
	v_bitop3_b32 v2, s46, 8, v18 bitop3:0x36
	v_bitop3_b32 v3, s46, 32, v18 bitop3:0x36
	;; [unrolled: 1-line block ×3, first 2 shown]
	v_xor_b32_e32 v5, s2, v19
	v_bitop3_b32 v23, v1, 32, v0 bitop3:0x34
	v_ashrrev_i32_e32 v37, 31, v36
	v_ashrrev_i32_e32 v11, 31, v10
	;; [unrolled: 1-line block ×8, first 2 shown]
	v_lshl_add_u64 v[96:97], v[16:17], 1, s[6:7]
	v_ashrrev_i32_e32 v47, 31, v46
	v_ashrrev_i32_e32 v49, 31, v48
	;; [unrolled: 1-line block ×3, first 2 shown]
	v_lshl_add_u64 v[108:109], v[6:7], 1, s[6:7]
	v_lshl_add_u64 v[110:111], v[8:9], 1, s[6:7]
	v_xor_b32_e32 v6, 32, v20
	v_xor_b32_e32 v7, 64, v20
	;; [unrolled: 1-line block ×3, first 2 shown]
	v_add_u32_e32 v124, 0, v2
	v_add_u32_e32 v125, 0, v3
	;; [unrolled: 1-line block ×3, first 2 shown]
	v_xor_b32_e32 v2, 16, v5
	v_xor_b32_e32 v3, 32, v5
	;; [unrolled: 1-line block ×3, first 2 shown]
	v_mov_b32_e32 v16, 0
	v_lshl_add_u64 v[0:1], v[36:37], 1, s[6:7]
	v_lshl_add_u64 v[82:83], v[10:11], 1, s[6:7]
	;; [unrolled: 1-line block ×11, first 2 shown]
	.loc	1 84 53                         ; triton_prefill_attention_aot.py:84:53
	s_mul_i32 s2, s9, s22
	s_lshl_b32 s52, s22, 6
	s_mul_i32 s4, s9, s20
	s_lshl_b32 s53, s20, 6
	v_add_u32_e32 v119, 0, v20
	v_add_u32_e32 v120, 0, v6
	v_add_u32_e32 v121, 0, v7
	v_add_u32_e32 v122, 0, v8
	v_add_u32_e32 v123, 0, v21
	v_add_u32_e32 v127, 0, v22
	v_add_u32_e32 v128, 0, v23
	v_add_u32_e32 v129, 0, v5
	v_add_u32_e32 v130, 0, v2
	v_add_u32_e32 v131, 0, v3
	v_add_u32_e32 v132, 0, v4
	v_add_u32_e32 v133, 0, v24
	v_add_u32_e32 v134, 0, v25
	v_mov_b32_e32 v17, v16
	v_mov_b32_e32 v14, v16
	;; [unrolled: 1-line block ×15, first 2 shown]
	.loc	1 51 17                         ; triton_prefill_attention_aot.py:51:17
	v_lshrrev_b32_e32 v135, 3, v112
	v_add_u32_e32 v136, 0, v114
	v_mov_b32_e32 v138, 0
	v_mov_b32_e32 v139, 0xff800000
	;; [unrolled: 1-line block ×3, first 2 shown]
	s_branch .LBB0_40
.LBB0_38:                               ;   in Loop: Header=BB0_40 Depth=1
	.loc	1 130 21                        ; triton_prefill_attention_aot.py:130:21
	v_lshl_add_u64 v[176:177], s[2:3], 1, v[110:111]
	.loc	1 130 12 is_stmt 0              ; triton_prefill_attention_aot.py:130:12
	global_load_ushort v175, v[176:177], off
.LBB0_39:                               ;   in Loop: Header=BB0_40 Depth=1
	.loc	1 134 17 is_stmt 1              ; triton_prefill_attention_aot.py:134:17
	v_cvt_f16_f32_e32 v48, v48
	v_cvt_f16_f32_e32 v40, v40
	;; [unrolled: 1-line block ×16, first 2 shown]
	s_waitcnt lgkmcnt(0)
	s_barrier
	ds_write_b16 v123, v48
	ds_write_b16 v123, v47 offset:128
	ds_write_b16 v123, v140 offset:2048
	ds_write_b16 v123, v49 offset:2176
	v_cvt_f16_f32_e32 v47, v142
	ds_write_b16 v124, v40 offset:256
	ds_write_b16 v124, v39 offset:384
	ds_write_b16 v124, v42 offset:2304
	ds_write_b16 v124, v41 offset:2432
	v_cvt_f16_f32_e32 v39, v44
	ds_write_b16 v125, v32 offset:1024
	;; [unrolled: 5-line block ×3, first 2 shown]
	ds_write_b16 v126, v23 offset:1408
	ds_write_b16 v126, v26 offset:3328
	;; [unrolled: 1-line block ×3, first 2 shown]
	v_cvt_f16_f32_e32 v23, v28
	v_cvt_f16_f32_e32 v48, v141
	;; [unrolled: 1-line block ×13, first 2 shown]
	ds_write_b16 v123, v47 offset:4096
	ds_write_b16 v123, v48 offset:4224
	;; [unrolled: 1-line block ×16, first 2 shown]
	s_waitcnt lgkmcnt(0)
	s_barrier
	ds_read_b64_tr_b16 v[24:25], v127
	ds_read_b64_tr_b16 v[28:29], v127 offset:2048
	ds_read_b64_tr_b16 v[32:33], v127 offset:4096
	;; [unrolled: 1-line block ×7, first 2 shown]
	.loc	1 130 12                        ; triton_prefill_attention_aot.py:130:12
	s_waitcnt lgkmcnt(0)
	s_barrier
	s_waitcnt vmcnt(0)
	ds_write_b16 v129, v139
	ds_write_b16 v129, v164 offset:2048
	ds_write_b16 v129, v168 offset:4096
	;; [unrolled: 1-line block ×15, first 2 shown]
	s_waitcnt lgkmcnt(0)
	s_barrier
	ds_read_b64_tr_b16 v[40:41], v133
	ds_read_b64_tr_b16 v[44:45], v133 offset:2048
	ds_read_b64_tr_b16 v[140:141], v133 offset:4096
	;; [unrolled: 1-line block ×7, first 2 shown]
	.loc	1 135 27                        ; triton_prefill_attention_aot.py:135:27
	v_pk_mul_f32 v[16:17], v[16:17], v[18:19] op_sel_hi:[1,0]
	v_pk_mul_f32 v[14:15], v[14:15], v[18:19] op_sel_hi:[1,0]
	v_pk_mul_f32 v[12:13], v[12:13], v[18:19] op_sel_hi:[1,0]
	v_pk_mul_f32 v[10:11], v[10:11], v[18:19] op_sel_hi:[1,0]
	v_pk_mul_f32 v[8:9], v[8:9], v[18:19] op_sel_hi:[1,0]
	v_pk_mul_f32 v[6:7], v[6:7], v[18:19] op_sel_hi:[1,0]
	v_pk_mul_f32 v[4:5], v[4:5], v[18:19] op_sel_hi:[1,0]
	v_pk_mul_f32 v[2:3], v[2:3], v[18:19] op_sel_hi:[1,0]
.Ltmp2:
	.file	2 "/root/.local/lib/python3.13/site-packages/triton/language" "standard.py"
	.loc	2 263 15                        ; standard.py:263:15 @[ standard.py:293:36 @[ triton_prefill_attention_aot.py:121:25 ] ]
	v_add_f32_e32 v20, v20, v21
.Ltmp3:
	.loc	1 125 28                        ; triton_prefill_attention_aot.py:125:28
	v_fmac_f32_e32 v20, v138, v22
	.loc	1 135 27                        ; triton_prefill_attention_aot.py:135:27
	s_waitcnt lgkmcnt(3)
	v_mfma_f32_32x32x16_f16 v[2:17], v[40:43], v[24:27], v[2:17]
	.loc	1 84 53                         ; triton_prefill_attention_aot.py:84:53
	s_add_i32 s50, s50, 64
	s_add_i32 s2, s2, s52
	;; [unrolled: 1-line block ×3, first 2 shown]
	s_cmp_lt_i32 s50, s49
	v_mov_b32_e32 v138, v20
	v_mov_b32_e32 v139, v19
	.loc	1 135 27                        ; triton_prefill_attention_aot.py:135:27
	s_waitcnt lgkmcnt(2)
	v_mfma_f32_32x32x16_f16 v[2:17], v[44:47], v[28:31], v[2:17]
	s_waitcnt lgkmcnt(1)
	v_mfma_f32_32x32x16_f16 v[2:17], v[140:143], v[32:35], v[2:17]
	;; [unrolled: 2-line block ×3, first 2 shown]
	.loc	1 84 53                         ; triton_prefill_attention_aot.py:84:53
	s_cbranch_scc0 .LBB0_120
.LBB0_40:                               ; =>This Inner Loop Header: Depth=1
	.loc	1 88 26                         ; triton_prefill_attention_aot.py:88:26
	s_add_i32 s3, s47, s50
	.loc	1 91 23                         ; triton_prefill_attention_aot.py:91:23
	s_cmp_lt_i32 s3, s16
	s_cselect_b64 s[6:7], -1, 0
	.loc	1 111 21                        ; triton_prefill_attention_aot.py:111:21
	s_ashr_i32 s5, s4, 31
	.loc	1 91 23                         ; triton_prefill_attention_aot.py:91:23
	s_cmp_ge_i32 s3, s16
	.loc	1 111 12                        ; triton_prefill_attention_aot.py:111:12
	s_cbranch_scc1 .LBB0_42
; %bb.41:                               ;   in Loop: Header=BB0_40 Depth=1
	.loc	1 0 12 is_stmt 0                ; triton_prefill_attention_aot.py:0:12
	v_lshl_add_u64 v[18:19], s[4:5], 1, v[50:51]
	.loc	1 111 12                        ; triton_prefill_attention_aot.py:111:12
	global_load_ushort v18, v[18:19], off
	s_branch .LBB0_43
.LBB0_42:                               ;   in Loop: Header=BB0_40 Depth=1
	.loc	1 0 12                          ; triton_prefill_attention_aot.py:0:12
	v_mov_b32_e32 v18, 0
.LBB0_43:                               ;   in Loop: Header=BB0_40 Depth=1
	.loc	1 88 26 is_stmt 1               ; triton_prefill_attention_aot.py:88:26
	s_add_i32 s12, s3, 4
	.loc	1 91 23                         ; triton_prefill_attention_aot.py:91:23
	s_cmp_lt_i32 s12, s16
	s_cselect_b64 s[10:11], -1, 0
	s_cmp_ge_i32 s12, s16
	.loc	1 111 12                        ; triton_prefill_attention_aot.py:111:12
	s_cbranch_scc1 .LBB0_45
; %bb.44:                               ;   in Loop: Header=BB0_40 Depth=1
	.loc	1 111 21 is_stmt 0              ; triton_prefill_attention_aot.py:111:21
	v_lshl_add_u64 v[20:21], s[4:5], 1, v[52:53]
	.loc	1 111 12                        ; triton_prefill_attention_aot.py:111:12
	global_load_ushort v19, v[20:21], off
	s_branch .LBB0_46
.LBB0_45:                               ;   in Loop: Header=BB0_40 Depth=1
	.loc	1 0 12                          ; triton_prefill_attention_aot.py:0:12
	v_mov_b32_e32 v19, 0
.LBB0_46:                               ;   in Loop: Header=BB0_40 Depth=1
	.loc	1 88 26 is_stmt 1               ; triton_prefill_attention_aot.py:88:26
	s_add_i32 s18, s3, 8
	.loc	1 91 23                         ; triton_prefill_attention_aot.py:91:23
	s_cmp_lt_i32 s18, s16
	s_cselect_b64 s[12:13], -1, 0
	s_cmp_ge_i32 s18, s16
	.loc	1 111 12                        ; triton_prefill_attention_aot.py:111:12
	s_cbranch_scc1 .LBB0_48
; %bb.47:                               ;   in Loop: Header=BB0_40 Depth=1
	.loc	1 111 21 is_stmt 0              ; triton_prefill_attention_aot.py:111:21
	v_lshl_add_u64 v[20:21], s[4:5], 1, v[54:55]
	.loc	1 111 12                        ; triton_prefill_attention_aot.py:111:12
	global_load_ushort v20, v[20:21], off
	s_branch .LBB0_49
.LBB0_48:                               ;   in Loop: Header=BB0_40 Depth=1
	.loc	1 0 12                          ; triton_prefill_attention_aot.py:0:12
	v_mov_b32_e32 v20, 0
.LBB0_49:                               ;   in Loop: Header=BB0_40 Depth=1
	;; [unrolled: 18-line block ×14, first 2 shown]
	.loc	1 91 23 is_stmt 1               ; triton_prefill_attention_aot.py:91:23
	s_add_i32 s3, s3, 60
	s_cmp_lt_i32 s3, s16
	s_cselect_b64 s[44:45], -1, 0
	s_cmp_ge_i32 s3, s16
	.loc	1 111 12                        ; triton_prefill_attention_aot.py:111:12
	s_cbranch_scc1 .LBB0_87
; %bb.86:                               ;   in Loop: Header=BB0_40 Depth=1
	.loc	1 111 21 is_stmt 0              ; triton_prefill_attention_aot.py:111:21
	v_lshl_add_u64 v[34:35], s[4:5], 1, v[80:81]
	.loc	1 111 12                        ; triton_prefill_attention_aot.py:111:12
	global_load_ushort v33, v[34:35], off
	s_branch .LBB0_88
.LBB0_87:                               ;   in Loop: Header=BB0_40 Depth=1
	.loc	1 0 12                          ; triton_prefill_attention_aot.py:0:12
	v_mov_b32_e32 v33, 0
.LBB0_88:                               ;   in Loop: Header=BB0_40 Depth=1
	.loc	1 111 12 is_stmt 1              ; triton_prefill_attention_aot.py:111:12
	s_waitcnt lgkmcnt(0)
	s_barrier
	s_waitcnt vmcnt(0)
	ds_write_b16 v115, v18
	ds_write_b16 v115, v22 offset:2048
	ds_write_b16 v115, v26 offset:4096
	;; [unrolled: 1-line block ×15, first 2 shown]
	s_waitcnt lgkmcnt(0)
	s_barrier
	ds_read_b128 v[34:37], v119
	ds_read_b128 v[188:191], v122 offset:4096
	ds_read_b128 v[174:177], v120 offset:4096
	;; [unrolled: 1-line block ×3, first 2 shown]
	.loc	1 88 26                         ; triton_prefill_attention_aot.py:88:26
	v_add_u32_e32 v140, s50, v135
	.loc	1 116 23                        ; triton_prefill_attention_aot.py:116:23
	s_waitcnt lgkmcnt(3)
	v_mfma_f32_32x32x16_f16 v[18:33], v[34:37], v[146:149], 0
	.loc	1 111 12                        ; triton_prefill_attention_aot.py:111:12
	ds_read_b128 v[34:37], v120
	.loc	1 88 26                         ; triton_prefill_attention_aot.py:88:26
	v_add_u32_e32 v141, 1, v140
	.loc	1 91 23                         ; triton_prefill_attention_aot.py:91:23
	v_cmp_gt_i32_e32 vcc, s16, v140
	.loc	1 88 26                         ; triton_prefill_attention_aot.py:88:26
	v_add_u32_e32 v142, 2, v140
	v_add_u32_e32 v143, 3, v140
	;; [unrolled: 1-line block ×4, first 2 shown]
	.loc	1 116 23                        ; triton_prefill_attention_aot.py:116:23
	s_waitcnt lgkmcnt(0)
	v_mfma_f32_32x32x16_f16 v[18:33], v[34:37], v[150:153], v[18:33]
	.loc	1 111 12                        ; triton_prefill_attention_aot.py:111:12
	ds_read_b128 v[34:37], v121
	ds_read_b128 v[168:171], v119 offset:4096
	ds_read_b128 v[38:41], v122
	.loc	1 88 26                         ; triton_prefill_attention_aot.py:88:26
	v_add_u32_e32 v162, 10, v140
	v_add_u32_e32 v163, 11, v140
	;; [unrolled: 1-line block ×6, first 2 shown]
	.loc	1 116 23                        ; triton_prefill_attention_aot.py:116:23
	s_waitcnt lgkmcnt(2)
	v_mfma_f32_32x32x16_f16 v[18:33], v[34:37], v[154:157], v[18:33]
	.loc	1 88 26                         ; triton_prefill_attention_aot.py:88:26
	v_add_u32_e32 v172, 32, v140
	v_add_u32_e32 v173, 33, v140
	;; [unrolled: 1-line block ×7, first 2 shown]
	.loc	1 116 23                        ; triton_prefill_attention_aot.py:116:23
	s_waitcnt lgkmcnt(0)
	v_mfma_f32_32x32x16_f16 v[18:33], v[38:41], v[158:161], v[18:33]
	.loc	1 88 26                         ; triton_prefill_attention_aot.py:88:26
	v_add_u32_e32 v187, 59, v140
	.loc	1 127 20                        ; triton_prefill_attention_aot.py:127:20
	s_waitcnt lgkmcnt(0)
	s_barrier
	.loc	1 130 21                        ; triton_prefill_attention_aot.py:130:21
	s_ashr_i32 s3, s2, 31
	.loc	1 116 23                        ; triton_prefill_attention_aot.py:116:23
	v_mfma_f32_32x32x16_f16 v[34:49], v[168:171], v[146:149], 0
	.loc	1 117 33                        ; triton_prefill_attention_aot.py:117:33
	s_nop 6
	v_mul_f32_e32 v18, s8, v18
	v_mul_f32_e32 v19, s8, v19
	.loc	1 117 43 is_stmt 0              ; triton_prefill_attention_aot.py:117:43
	v_cndmask_b32_e32 v18, v137, v18, vcc
	.loc	1 91 23 is_stmt 1               ; triton_prefill_attention_aot.py:91:23
	v_cmp_gt_i32_e32 vcc, s16, v141
	.loc	1 88 26                         ; triton_prefill_attention_aot.py:88:26
	v_add_u32_e32 v168, 24, v140
	v_add_u32_e32 v169, 25, v140
	;; [unrolled: 1-line block ×3, first 2 shown]
	.loc	1 116 23                        ; triton_prefill_attention_aot.py:116:23
	v_mfma_f32_32x32x16_f16 v[34:49], v[174:177], v[150:153], v[34:49]
	.loc	1 88 26                         ; triton_prefill_attention_aot.py:88:26
	v_add_u32_e32 v171, 27, v140
	v_add_u32_e32 v174, 34, v140
	;; [unrolled: 1-line block ×5, first 2 shown]
	.loc	1 117 33                        ; triton_prefill_attention_aot.py:117:33
	v_mul_f32_e32 v20, s8, v20
	v_mul_f32_e32 v21, s8, v21
	.loc	1 116 23                        ; triton_prefill_attention_aot.py:116:23
	v_mfma_f32_32x32x16_f16 v[34:49], v[182:185], v[154:157], v[34:49]
	.loc	1 88 26                         ; triton_prefill_attention_aot.py:88:26
	v_add_u32_e32 v182, 50, v140
	v_add_u32_e32 v183, 51, v140
	;; [unrolled: 1-line block ×4, first 2 shown]
	.loc	1 117 43                        ; triton_prefill_attention_aot.py:117:43
	v_cndmask_b32_e32 v140, v137, v19, vcc
	.loc	1 91 23                         ; triton_prefill_attention_aot.py:91:23
	v_cmp_gt_i32_e32 vcc, s16, v142
	.loc	1 117 33                        ; triton_prefill_attention_aot.py:117:33
	v_mul_f32_e32 v22, s8, v22
	v_mul_f32_e32 v23, s8, v23
	.loc	1 117 43 is_stmt 0              ; triton_prefill_attention_aot.py:117:43
	v_cndmask_b32_e32 v20, v137, v20, vcc
	.loc	1 91 23 is_stmt 1               ; triton_prefill_attention_aot.py:91:23
	v_cmp_gt_i32_e32 vcc, s16, v143
	.loc	1 117 33                        ; triton_prefill_attention_aot.py:117:33
	v_mul_f32_e32 v24, s8, v24
	v_mul_f32_e32 v25, s8, v25
	.loc	1 117 43 is_stmt 0              ; triton_prefill_attention_aot.py:117:43
	v_cndmask_b32_e32 v21, v137, v21, vcc
	.loc	1 91 23 is_stmt 1               ; triton_prefill_attention_aot.py:91:23
	v_cmp_gt_i32_e32 vcc, s16, v144
	.loc	1 116 23                        ; triton_prefill_attention_aot.py:116:23
	v_mfma_f32_32x32x16_f16 v[34:49], v[188:191], v[158:161], v[34:49]
	.loc	1 117 33                        ; triton_prefill_attention_aot.py:117:33
	v_mul_f32_e32 v26, s8, v26
	.loc	1 117 43 is_stmt 0              ; triton_prefill_attention_aot.py:117:43
	v_cndmask_b32_e32 v22, v137, v22, vcc
	.loc	1 91 23 is_stmt 1               ; triton_prefill_attention_aot.py:91:23
	v_cmp_gt_i32_e32 vcc, s16, v145
	.loc	1 117 33                        ; triton_prefill_attention_aot.py:117:33
	v_mul_f32_e32 v27, s8, v27
	v_mul_f32_e32 v28, s8, v28
	.loc	1 117 43 is_stmt 0              ; triton_prefill_attention_aot.py:117:43
	v_cndmask_b32_e32 v23, v137, v23, vcc
	.loc	1 91 23 is_stmt 1               ; triton_prefill_attention_aot.py:91:23
	v_cmp_gt_i32_e32 vcc, s16, v162
	.loc	1 117 33                        ; triton_prefill_attention_aot.py:117:33
	v_mul_f32_e32 v29, s8, v29
	;; [unrolled: 7-line block ×5, first 2 shown]
	v_mul_f32_e32 v36, s8, v36
	.loc	1 117 43 is_stmt 0              ; triton_prefill_attention_aot.py:117:43
	v_cndmask_b32_e32 v27, v137, v27, vcc
	.loc	1 91 23 is_stmt 1               ; triton_prefill_attention_aot.py:91:23
	v_cmp_gt_i32_e32 vcc, s16, v166
.Ltmp4:
	.loc	2 170 27                        ; standard.py:170:27 @[ standard.py:191:40 @[ triton_prefill_attention_aot.py:118:42 ] ]
	v_max_f32_e32 v19, v18, v140
.Ltmp5:
	.loc	1 117 33                        ; triton_prefill_attention_aot.py:117:33
	v_mul_f32_e32 v37, s8, v37
	.loc	1 117 43 is_stmt 0              ; triton_prefill_attention_aot.py:117:43
	v_cndmask_b32_e32 v28, v137, v28, vcc
	.loc	1 91 23 is_stmt 1               ; triton_prefill_attention_aot.py:91:23
	v_cmp_gt_i32_e32 vcc, s16, v167
.Ltmp6:
	.loc	2 170 27                        ; standard.py:170:27 @[ standard.py:191:40 @[ triton_prefill_attention_aot.py:118:42 ] ]
	v_max3_f32 v19, v19, v20, v21
.Ltmp7:
	.loc	1 117 33                        ; triton_prefill_attention_aot.py:117:33
	v_mul_f32_e32 v38, s8, v38
	.loc	1 117 43 is_stmt 0              ; triton_prefill_attention_aot.py:117:43
	v_cndmask_b32_e32 v29, v137, v29, vcc
	.loc	1 91 23 is_stmt 1               ; triton_prefill_attention_aot.py:91:23
	v_cmp_gt_i32_e32 vcc, s16, v168
.Ltmp8:
	.loc	2 170 27                        ; standard.py:170:27 @[ standard.py:191:40 @[ triton_prefill_attention_aot.py:118:42 ] ]
	v_max3_f32 v19, v19, v22, v23
.Ltmp9:
	.loc	1 117 33                        ; triton_prefill_attention_aot.py:117:33
	v_mul_f32_e32 v39, s8, v39
	.loc	1 117 43 is_stmt 0              ; triton_prefill_attention_aot.py:117:43
	v_cndmask_b32_e32 v30, v137, v30, vcc
	.loc	1 91 23 is_stmt 1               ; triton_prefill_attention_aot.py:91:23
	v_cmp_gt_i32_e32 vcc, s16, v169
.Ltmp10:
	.loc	2 170 27                        ; standard.py:170:27 @[ standard.py:191:40 @[ triton_prefill_attention_aot.py:118:42 ] ]
	v_max3_f32 v19, v19, v24, v25
.Ltmp11:
	.loc	1 117 33                        ; triton_prefill_attention_aot.py:117:33
	v_mul_f32_e32 v40, s8, v40
	.loc	1 117 43 is_stmt 0              ; triton_prefill_attention_aot.py:117:43
	v_cndmask_b32_e32 v31, v137, v31, vcc
	.loc	1 91 23 is_stmt 1               ; triton_prefill_attention_aot.py:91:23
	v_cmp_gt_i32_e32 vcc, s16, v170
.Ltmp12:
	.loc	2 170 27                        ; standard.py:170:27 @[ standard.py:191:40 @[ triton_prefill_attention_aot.py:118:42 ] ]
	v_max3_f32 v19, v19, v26, v27
.Ltmp13:
	.loc	1 117 33                        ; triton_prefill_attention_aot.py:117:33
	v_mul_f32_e32 v41, s8, v41
	.loc	1 117 43 is_stmt 0              ; triton_prefill_attention_aot.py:117:43
	v_cndmask_b32_e32 v32, v137, v32, vcc
	.loc	1 91 23 is_stmt 1               ; triton_prefill_attention_aot.py:91:23
	v_cmp_gt_i32_e32 vcc, s16, v171
.Ltmp14:
	.loc	2 170 27                        ; standard.py:170:27 @[ standard.py:191:40 @[ triton_prefill_attention_aot.py:118:42 ] ]
	v_max3_f32 v19, v19, v28, v29
.Ltmp15:
	.loc	1 117 33                        ; triton_prefill_attention_aot.py:117:33
	v_mul_f32_e32 v42, s8, v42
	.loc	1 117 43 is_stmt 0              ; triton_prefill_attention_aot.py:117:43
	v_cndmask_b32_e32 v33, v137, v33, vcc
	.loc	1 91 23 is_stmt 1               ; triton_prefill_attention_aot.py:91:23
	v_cmp_gt_i32_e32 vcc, s16, v172
.Ltmp16:
	.loc	2 170 27                        ; standard.py:170:27 @[ standard.py:191:40 @[ triton_prefill_attention_aot.py:118:42 ] ]
	v_max3_f32 v19, v19, v30, v31
.Ltmp17:
	.loc	1 117 33                        ; triton_prefill_attention_aot.py:117:33
	v_mul_f32_e32 v43, s8, v43
	.loc	1 117 43 is_stmt 0              ; triton_prefill_attention_aot.py:117:43
	v_cndmask_b32_e32 v34, v137, v34, vcc
	.loc	1 91 23 is_stmt 1               ; triton_prefill_attention_aot.py:91:23
	v_cmp_gt_i32_e32 vcc, s16, v173
.Ltmp18:
	.loc	2 170 27                        ; standard.py:170:27 @[ standard.py:191:40 @[ triton_prefill_attention_aot.py:118:42 ] ]
	v_max3_f32 v19, v19, v32, v33
.Ltmp19:
	.loc	1 117 33                        ; triton_prefill_attention_aot.py:117:33
	v_mul_f32_e32 v44, s8, v44
	.loc	1 117 43 is_stmt 0              ; triton_prefill_attention_aot.py:117:43
	v_cndmask_b32_e32 v35, v137, v35, vcc
	.loc	1 91 23 is_stmt 1               ; triton_prefill_attention_aot.py:91:23
	v_cmp_gt_i32_e32 vcc, s16, v174
.Ltmp20:
	.loc	2 170 27                        ; standard.py:170:27 @[ standard.py:191:40 @[ triton_prefill_attention_aot.py:118:42 ] ]
	v_max3_f32 v19, v19, v34, v35
.Ltmp21:
	.loc	1 117 33                        ; triton_prefill_attention_aot.py:117:33
	v_mul_f32_e32 v45, s8, v45
	.loc	1 117 43 is_stmt 0              ; triton_prefill_attention_aot.py:117:43
	v_cndmask_b32_e32 v36, v137, v36, vcc
	.loc	1 91 23 is_stmt 1               ; triton_prefill_attention_aot.py:91:23
	v_cmp_gt_i32_e32 vcc, s16, v175
	.loc	1 117 33                        ; triton_prefill_attention_aot.py:117:33
	v_mul_f32_e32 v46, s8, v46
	v_mul_f32_e32 v47, s8, v47
	.loc	1 117 43 is_stmt 0              ; triton_prefill_attention_aot.py:117:43
	v_cndmask_b32_e32 v37, v137, v37, vcc
	.loc	1 91 23 is_stmt 1               ; triton_prefill_attention_aot.py:91:23
	v_cmp_gt_i32_e32 vcc, s16, v176
.Ltmp22:
	.loc	2 170 27                        ; standard.py:170:27 @[ standard.py:191:40 @[ triton_prefill_attention_aot.py:118:42 ] ]
	v_max3_f32 v19, v19, v36, v37
.Ltmp23:
	.loc	1 117 33                        ; triton_prefill_attention_aot.py:117:33
	v_mul_f32_e32 v48, s8, v48
	.loc	1 117 43 is_stmt 0              ; triton_prefill_attention_aot.py:117:43
	v_cndmask_b32_e32 v38, v137, v38, vcc
	.loc	1 91 23 is_stmt 1               ; triton_prefill_attention_aot.py:91:23
	v_cmp_gt_i32_e32 vcc, s16, v177
	.loc	1 117 33                        ; triton_prefill_attention_aot.py:117:33
	v_mul_f32_e32 v49, s8, v49
	.loc	1 117 43 is_stmt 0              ; triton_prefill_attention_aot.py:117:43
	s_nop 0
	v_cndmask_b32_e32 v39, v137, v39, vcc
	.loc	1 91 23 is_stmt 1               ; triton_prefill_attention_aot.py:91:23
	v_cmp_gt_i32_e32 vcc, s16, v178
.Ltmp24:
	.loc	2 170 27                        ; standard.py:170:27 @[ standard.py:191:40 @[ triton_prefill_attention_aot.py:118:42 ] ]
	v_max3_f32 v19, v19, v38, v39
.Ltmp25:
	.loc	1 117 43                        ; triton_prefill_attention_aot.py:117:43
	s_nop 0
	v_cndmask_b32_e32 v40, v137, v40, vcc
	.loc	1 91 23                         ; triton_prefill_attention_aot.py:91:23
	v_cmp_gt_i32_e32 vcc, s16, v179
	.loc	1 117 43                        ; triton_prefill_attention_aot.py:117:43
	s_nop 1
	v_cndmask_b32_e32 v41, v137, v41, vcc
	.loc	1 91 23                         ; triton_prefill_attention_aot.py:91:23
	v_cmp_gt_i32_e32 vcc, s16, v180
.Ltmp26:
	.loc	2 170 27                        ; standard.py:170:27 @[ standard.py:191:40 @[ triton_prefill_attention_aot.py:118:42 ] ]
	v_max3_f32 v19, v19, v40, v41
.Ltmp27:
	.loc	1 117 43                        ; triton_prefill_attention_aot.py:117:43
	s_nop 0
	v_cndmask_b32_e32 v42, v137, v42, vcc
	.loc	1 91 23                         ; triton_prefill_attention_aot.py:91:23
	v_cmp_gt_i32_e32 vcc, s16, v181
	.loc	1 117 43                        ; triton_prefill_attention_aot.py:117:43
	s_nop 1
	v_cndmask_b32_e32 v43, v137, v43, vcc
	.loc	1 91 23                         ; triton_prefill_attention_aot.py:91:23
	v_cmp_gt_i32_e32 vcc, s16, v182
.Ltmp28:
	.loc	2 170 27                        ; standard.py:170:27 @[ standard.py:191:40 @[ triton_prefill_attention_aot.py:118:42 ] ]
	v_max3_f32 v19, v19, v42, v43
.Ltmp29:
	.loc	1 117 43                        ; triton_prefill_attention_aot.py:117:43
	s_nop 0
	v_cndmask_b32_e32 v44, v137, v44, vcc
	.loc	1 91 23                         ; triton_prefill_attention_aot.py:91:23
	v_cmp_gt_i32_e32 vcc, s16, v183
	.loc	1 117 43                        ; triton_prefill_attention_aot.py:117:43
	s_nop 1
	v_cndmask_b32_e32 v45, v137, v45, vcc
	.loc	1 91 23                         ; triton_prefill_attention_aot.py:91:23
	v_cmp_gt_i32_e32 vcc, s16, v184
.Ltmp30:
	.loc	2 170 27                        ; standard.py:170:27 @[ standard.py:191:40 @[ triton_prefill_attention_aot.py:118:42 ] ]
	v_max3_f32 v19, v19, v44, v45
.Ltmp31:
	.loc	1 117 43                        ; triton_prefill_attention_aot.py:117:43
	s_nop 0
	v_cndmask_b32_e32 v46, v137, v46, vcc
	.loc	1 91 23                         ; triton_prefill_attention_aot.py:91:23
	v_cmp_gt_i32_e32 vcc, s16, v185
	.loc	1 117 43                        ; triton_prefill_attention_aot.py:117:43
	s_nop 1
	v_cndmask_b32_e32 v47, v137, v47, vcc
	.loc	1 91 23                         ; triton_prefill_attention_aot.py:91:23
	v_cmp_gt_i32_e32 vcc, s16, v186
.Ltmp32:
	.loc	2 170 27                        ; standard.py:170:27 @[ standard.py:191:40 @[ triton_prefill_attention_aot.py:118:42 ] ]
	v_max3_f32 v19, v19, v46, v47
.Ltmp33:
	.loc	1 117 43                        ; triton_prefill_attention_aot.py:117:43
	s_nop 0
	v_cndmask_b32_e32 v48, v137, v48, vcc
	.loc	1 91 23                         ; triton_prefill_attention_aot.py:91:23
	v_cmp_gt_i32_e32 vcc, s16, v187
	.loc	1 117 43                        ; triton_prefill_attention_aot.py:117:43
	s_nop 1
	v_cndmask_b32_e32 v49, v137, v49, vcc
.Ltmp34:
	.loc	2 170 27                        ; standard.py:170:27 @[ standard.py:191:40 @[ triton_prefill_attention_aot.py:118:42 ] ]
	v_max3_f32 v19, v19, v48, v49
.Ltmp35:
	.loc	2 191 40                        ; standard.py:191:40 @[ triton_prefill_attention_aot.py:118:42 ]
	v_mov_b32_e32 v141, v19
	s_nop 1
	v_permlane32_swap_b32_e32 v19, v141
.Ltmp36:
	.loc	1 118 31                        ; triton_prefill_attention_aot.py:118:31
	v_max3_f32 v19, v139, v19, v141
	.loc	1 119 14                        ; triton_prefill_attention_aot.py:119:14
	v_sub_f32_e32 v18, v18, v19
	v_sub_f32_e32 v140, v140, v19
	v_sub_f32_e32 v20, v20, v19
	v_sub_f32_e32 v168, v47, v19
	v_sub_f32_e32 v169, v48, v19
	.loc	1 120 25                        ; triton_prefill_attention_aot.py:120:25
	v_exp_f32_e32 v48, v18
	v_exp_f32_e32 v47, v140
	.loc	1 119 14                        ; triton_prefill_attention_aot.py:119:14
	v_sub_f32_e32 v21, v21, v19
	v_sub_f32_e32 v162, v40, v19
	.loc	1 120 25                        ; triton_prefill_attention_aot.py:120:25
	v_exp_f32_e32 v40, v20
	.loc	1 119 14                        ; triton_prefill_attention_aot.py:119:14
	v_sub_f32_e32 v22, v22, v19
	v_sub_f32_e32 v145, v39, v19
	.loc	1 120 25                        ; triton_prefill_attention_aot.py:120:25
	v_exp_f32_e32 v39, v21
	.loc	1 119 14                        ; triton_prefill_attention_aot.py:119:14
	v_sub_f32_e32 v23, v23, v19
	v_sub_f32_e32 v142, v32, v19
	.loc	1 120 25                        ; triton_prefill_attention_aot.py:120:25
	v_exp_f32_e32 v32, v22
	.loc	1 119 14                        ; triton_prefill_attention_aot.py:119:14
	v_sub_f32_e32 v24, v24, v19
	v_sub_f32_e32 v141, v31, v19
	.loc	1 120 25                        ; triton_prefill_attention_aot.py:120:25
	v_exp_f32_e32 v31, v23
.Ltmp37:
	.loc	2 263 15                        ; standard.py:263:15 @[ standard.py:293:36 @[ triton_prefill_attention_aot.py:121:25 ] ]
	v_add_f32_e32 v18, v48, v47
.Ltmp38:
	.loc	1 119 14                        ; triton_prefill_attention_aot.py:119:14
	v_sub_f32_e32 v25, v25, v19
	.loc	1 120 25                        ; triton_prefill_attention_aot.py:120:25
	v_exp_f32_e32 v24, v24
.Ltmp39:
	.loc	2 263 15                        ; standard.py:263:15 @[ standard.py:293:36 @[ triton_prefill_attention_aot.py:121:25 ] ]
	v_add_f32_e32 v18, v40, v18
.Ltmp40:
	.loc	1 119 14                        ; triton_prefill_attention_aot.py:119:14
	v_sub_f32_e32 v26, v26, v19
	.loc	1 120 25                        ; triton_prefill_attention_aot.py:120:25
	v_exp_f32_e32 v23, v25
.Ltmp41:
	.loc	2 263 15                        ; standard.py:263:15 @[ standard.py:293:36 @[ triton_prefill_attention_aot.py:121:25 ] ]
	v_add_f32_e32 v18, v39, v18
.Ltmp42:
	.loc	1 119 14                        ; triton_prefill_attention_aot.py:119:14
	v_sub_f32_e32 v27, v27, v19
	.loc	1 120 25                        ; triton_prefill_attention_aot.py:120:25
	v_exp_f32_e32 v140, v26
.Ltmp43:
	.loc	2 263 15                        ; standard.py:263:15 @[ standard.py:293:36 @[ triton_prefill_attention_aot.py:121:25 ] ]
	v_add_f32_e32 v18, v32, v18
.Ltmp44:
	.loc	1 119 14                        ; triton_prefill_attention_aot.py:119:14
	v_sub_f32_e32 v28, v28, v19
	v_sub_f32_e32 v170, v49, v19
	.loc	1 120 25                        ; triton_prefill_attention_aot.py:120:25
	v_exp_f32_e32 v49, v27
.Ltmp45:
	.loc	2 263 15                        ; standard.py:263:15 @[ standard.py:293:36 @[ triton_prefill_attention_aot.py:121:25 ] ]
	v_add_f32_e32 v18, v31, v18
.Ltmp46:
	.loc	1 119 14                        ; triton_prefill_attention_aot.py:119:14
	v_sub_f32_e32 v29, v29, v19
	v_sub_f32_e32 v164, v42, v19
	.loc	1 120 25                        ; triton_prefill_attention_aot.py:120:25
	v_exp_f32_e32 v42, v28
.Ltmp47:
	.loc	2 263 15                        ; standard.py:263:15 @[ standard.py:293:36 @[ triton_prefill_attention_aot.py:121:25 ] ]
	v_add_f32_e32 v18, v24, v18
.Ltmp48:
	.loc	1 119 14                        ; triton_prefill_attention_aot.py:119:14
	v_sub_f32_e32 v30, v30, v19
	v_sub_f32_e32 v163, v41, v19
	.loc	1 120 25                        ; triton_prefill_attention_aot.py:120:25
	v_exp_f32_e32 v41, v29
.Ltmp49:
	.loc	2 263 15                        ; standard.py:263:15 @[ standard.py:293:36 @[ triton_prefill_attention_aot.py:121:25 ] ]
	v_add_f32_e32 v18, v23, v18
.Ltmp50:
	.loc	1 119 14                        ; triton_prefill_attention_aot.py:119:14
	v_sub_f32_e32 v144, v34, v19
	.loc	1 120 25                        ; triton_prefill_attention_aot.py:120:25
	v_exp_f32_e32 v34, v30
.Ltmp51:
	.loc	2 263 15                        ; standard.py:263:15 @[ standard.py:293:36 @[ triton_prefill_attention_aot.py:121:25 ] ]
	v_add_f32_e32 v18, v140, v18
.Ltmp52:
	.loc	1 119 14                        ; triton_prefill_attention_aot.py:119:14
	v_sub_f32_e32 v143, v33, v19
	.loc	1 120 25                        ; triton_prefill_attention_aot.py:120:25
	v_exp_f32_e32 v33, v141
.Ltmp53:
	.loc	2 263 15                        ; standard.py:263:15 @[ standard.py:293:36 @[ triton_prefill_attention_aot.py:121:25 ] ]
	v_add_f32_e32 v18, v49, v18
.Ltmp54:
	.loc	1 120 25                        ; triton_prefill_attention_aot.py:120:25
	v_exp_f32_e32 v26, v142
.Ltmp55:
	.loc	2 263 15                        ; standard.py:263:15 @[ standard.py:293:36 @[ triton_prefill_attention_aot.py:121:25 ] ]
	v_add_f32_e32 v18, v42, v18
.Ltmp56:
	.loc	1 120 25                        ; triton_prefill_attention_aot.py:120:25
	v_exp_f32_e32 v25, v143
.Ltmp57:
	.loc	2 263 15                        ; standard.py:263:15 @[ standard.py:293:36 @[ triton_prefill_attention_aot.py:121:25 ] ]
	v_add_f32_e32 v18, v41, v18
.Ltmp58:
	.loc	1 119 14                        ; triton_prefill_attention_aot.py:119:14
	v_sub_f32_e32 v35, v35, v19
	.loc	1 120 25                        ; triton_prefill_attention_aot.py:120:25
	v_exp_f32_e32 v142, v144
.Ltmp59:
	.loc	2 263 15                        ; standard.py:263:15 @[ standard.py:293:36 @[ triton_prefill_attention_aot.py:121:25 ] ]
	v_add_f32_e32 v18, v34, v18
.Ltmp60:
	.loc	1 119 14                        ; triton_prefill_attention_aot.py:119:14
	v_sub_f32_e32 v36, v36, v19
	.loc	1 120 25                        ; triton_prefill_attention_aot.py:120:25
	v_exp_f32_e32 v141, v35
.Ltmp61:
	.loc	2 263 15                        ; standard.py:263:15 @[ standard.py:293:36 @[ triton_prefill_attention_aot.py:121:25 ] ]
	v_add_f32_e32 v18, v33, v18
.Ltmp62:
	.loc	1 119 14                        ; triton_prefill_attention_aot.py:119:14
	v_sub_f32_e32 v37, v37, v19
	v_sub_f32_e32 v166, v44, v19
	.loc	1 120 25                        ; triton_prefill_attention_aot.py:120:25
	v_exp_f32_e32 v44, v36
.Ltmp63:
	.loc	2 263 15                        ; standard.py:263:15 @[ standard.py:293:36 @[ triton_prefill_attention_aot.py:121:25 ] ]
	v_add_f32_e32 v18, v26, v18
.Ltmp64:
	.loc	1 119 14                        ; triton_prefill_attention_aot.py:119:14
	v_sub_f32_e32 v38, v38, v19
	v_sub_f32_e32 v165, v43, v19
	.loc	1 120 25                        ; triton_prefill_attention_aot.py:120:25
	v_exp_f32_e32 v43, v37
.Ltmp65:
	.loc	2 263 15                        ; standard.py:263:15 @[ standard.py:293:36 @[ triton_prefill_attention_aot.py:121:25 ] ]
	v_add_f32_e32 v18, v25, v18
.Ltmp66:
	.loc	1 120 25                        ; triton_prefill_attention_aot.py:120:25
	v_exp_f32_e32 v36, v38
.Ltmp67:
	.loc	2 263 15                        ; standard.py:263:15 @[ standard.py:293:36 @[ triton_prefill_attention_aot.py:121:25 ] ]
	v_add_f32_e32 v18, v142, v18
.Ltmp68:
	.loc	1 120 25                        ; triton_prefill_attention_aot.py:120:25
	v_exp_f32_e32 v35, v145
.Ltmp69:
	.loc	2 263 15                        ; standard.py:263:15 @[ standard.py:293:36 @[ triton_prefill_attention_aot.py:121:25 ] ]
	v_add_f32_e32 v18, v141, v18
.Ltmp70:
	.loc	1 120 25                        ; triton_prefill_attention_aot.py:120:25
	v_exp_f32_e32 v28, v162
.Ltmp71:
	.loc	2 263 15                        ; standard.py:263:15 @[ standard.py:293:36 @[ triton_prefill_attention_aot.py:121:25 ] ]
	v_add_f32_e32 v18, v44, v18
.Ltmp72:
	.loc	1 120 25                        ; triton_prefill_attention_aot.py:120:25
	v_exp_f32_e32 v27, v163
.Ltmp73:
	.loc	2 263 15                        ; standard.py:263:15 @[ standard.py:293:36 @[ triton_prefill_attention_aot.py:121:25 ] ]
	v_add_f32_e32 v18, v43, v18
.Ltmp74:
	.loc	1 120 25                        ; triton_prefill_attention_aot.py:120:25
	v_exp_f32_e32 v144, v164
.Ltmp75:
	.loc	2 263 15                        ; standard.py:263:15 @[ standard.py:293:36 @[ triton_prefill_attention_aot.py:121:25 ] ]
	v_add_f32_e32 v18, v36, v18
.Ltmp76:
	.loc	1 120 25                        ; triton_prefill_attention_aot.py:120:25
	v_exp_f32_e32 v143, v165
.Ltmp77:
	.loc	2 263 15                        ; standard.py:263:15 @[ standard.py:293:36 @[ triton_prefill_attention_aot.py:121:25 ] ]
	v_add_f32_e32 v18, v35, v18
.Ltmp78:
	.loc	1 119 14                        ; triton_prefill_attention_aot.py:119:14
	v_sub_f32_e32 v45, v45, v19
	v_sub_f32_e32 v167, v46, v19
	.loc	1 120 25                        ; triton_prefill_attention_aot.py:120:25
	v_exp_f32_e32 v46, v166
.Ltmp79:
	.loc	2 263 15                        ; standard.py:263:15 @[ standard.py:293:36 @[ triton_prefill_attention_aot.py:121:25 ] ]
	v_add_f32_e32 v18, v28, v18
.Ltmp80:
	.loc	1 120 25                        ; triton_prefill_attention_aot.py:120:25
	v_exp_f32_e32 v45, v45
.Ltmp81:
	.loc	2 263 15                        ; standard.py:263:15 @[ standard.py:293:36 @[ triton_prefill_attention_aot.py:121:25 ] ]
	v_add_f32_e32 v18, v27, v18
.Ltmp82:
	.loc	1 120 25                        ; triton_prefill_attention_aot.py:120:25
	v_exp_f32_e32 v38, v167
.Ltmp83:
	.loc	2 263 15                        ; standard.py:263:15 @[ standard.py:293:36 @[ triton_prefill_attention_aot.py:121:25 ] ]
	v_add_f32_e32 v18, v144, v18
.Ltmp84:
	.loc	1 120 25                        ; triton_prefill_attention_aot.py:120:25
	v_exp_f32_e32 v37, v168
.Ltmp85:
	.loc	2 263 15                        ; standard.py:263:15 @[ standard.py:293:36 @[ triton_prefill_attention_aot.py:121:25 ] ]
	v_add_f32_e32 v18, v143, v18
.Ltmp86:
	.loc	1 120 25                        ; triton_prefill_attention_aot.py:120:25
	v_exp_f32_e32 v30, v169
.Ltmp87:
	.loc	2 263 15                        ; standard.py:263:15 @[ standard.py:293:36 @[ triton_prefill_attention_aot.py:121:25 ] ]
	v_add_f32_e32 v18, v46, v18
.Ltmp88:
	.loc	1 120 25                        ; triton_prefill_attention_aot.py:120:25
	v_exp_f32_e32 v29, v170
.Ltmp89:
	.loc	2 263 15                        ; standard.py:263:15 @[ standard.py:293:36 @[ triton_prefill_attention_aot.py:121:25 ] ]
	v_add_f32_e32 v18, v45, v18
	v_add_f32_e32 v18, v38, v18
	;; [unrolled: 1-line block ×5, first 2 shown]
.Ltmp90:
	.loc	1 124 35                        ; triton_prefill_attention_aot.py:124:35
	v_sub_f32_e32 v18, v139, v19
	.loc	1 124 29 is_stmt 0              ; triton_prefill_attention_aot.py:124:29
	v_exp_f32_e32 v22, v18
	.loc	1 127 20 is_stmt 1              ; triton_prefill_attention_aot.py:127:20
	v_add_u32_e32 v18, s51, v136
.Ltmp91:
	.loc	2 293 36                        ; standard.py:293:36 @[ triton_prefill_attention_aot.py:121:25 ]
	v_mov_b32_e32 v21, v20
	s_nop 1
	v_permlane32_swap_b32_e32 v20, v21
.Ltmp92:
	.loc	1 127 20                        ; triton_prefill_attention_aot.py:127:20
	ds_write_b32 v18, v22
	v_add_u32_e32 v18, s48, v136
	s_waitcnt lgkmcnt(0)
	s_barrier
	ds_read_b32 v18, v18
	.loc	1 130 12                        ; triton_prefill_attention_aot.py:130:12
	s_andn2_b64 vcc, exec, s[6:7]
	s_cbranch_vccnz .LBB0_104
; %bb.89:                               ;   in Loop: Header=BB0_40 Depth=1
	.loc	1 0 12 is_stmt 0                ; triton_prefill_attention_aot.py:0:12
	v_lshl_add_u64 v[162:163], s[2:3], 1, v[0:1]
	.loc	1 130 12                        ; triton_prefill_attention_aot.py:130:12
	global_load_ushort v139, v[162:163], off
	s_andn2_b64 vcc, exec, s[10:11]
	s_cbranch_vccz .LBB0_105
.LBB0_90:                               ;   in Loop: Header=BB0_40 Depth=1
	.loc	1 0 12                          ; triton_prefill_attention_aot.py:0:12
	v_mov_b32_e32 v145, 0
	.loc	1 130 12                        ; triton_prefill_attention_aot.py:130:12
	s_andn2_b64 vcc, exec, s[12:13]
	s_cbranch_vccz .LBB0_106
.LBB0_91:                               ;   in Loop: Header=BB0_40 Depth=1
	.loc	1 0 12                          ; triton_prefill_attention_aot.py:0:12
	v_mov_b32_e32 v162, 0
	.loc	1 130 12                        ; triton_prefill_attention_aot.py:130:12
	s_andn2_b64 vcc, exec, s[18:19]
	s_cbranch_vccz .LBB0_107
.LBB0_92:                               ;   in Loop: Header=BB0_40 Depth=1
	.loc	1 0 12                          ; triton_prefill_attention_aot.py:0:12
	v_mov_b32_e32 v163, 0
	.loc	1 130 12                        ; triton_prefill_attention_aot.py:130:12
	s_andn2_b64 vcc, exec, s[20:21]
	s_cbranch_vccz .LBB0_108
.LBB0_93:                               ;   in Loop: Header=BB0_40 Depth=1
	.loc	1 0 12                          ; triton_prefill_attention_aot.py:0:12
	v_mov_b32_e32 v164, 0
	.loc	1 130 12                        ; triton_prefill_attention_aot.py:130:12
	s_andn2_b64 vcc, exec, s[22:23]
	s_cbranch_vccz .LBB0_109
.LBB0_94:                               ;   in Loop: Header=BB0_40 Depth=1
	.loc	1 0 12                          ; triton_prefill_attention_aot.py:0:12
	v_mov_b32_e32 v165, 0
	.loc	1 130 12                        ; triton_prefill_attention_aot.py:130:12
	s_andn2_b64 vcc, exec, s[24:25]
	s_cbranch_vccz .LBB0_110
.LBB0_95:                               ;   in Loop: Header=BB0_40 Depth=1
	.loc	1 0 12                          ; triton_prefill_attention_aot.py:0:12
	v_mov_b32_e32 v166, 0
	.loc	1 130 12                        ; triton_prefill_attention_aot.py:130:12
	s_andn2_b64 vcc, exec, s[26:27]
	s_cbranch_vccz .LBB0_111
.LBB0_96:                               ;   in Loop: Header=BB0_40 Depth=1
	.loc	1 0 12                          ; triton_prefill_attention_aot.py:0:12
	v_mov_b32_e32 v167, 0
	.loc	1 130 12                        ; triton_prefill_attention_aot.py:130:12
	s_andn2_b64 vcc, exec, s[28:29]
	s_cbranch_vccz .LBB0_112
.LBB0_97:                               ;   in Loop: Header=BB0_40 Depth=1
	.loc	1 0 12                          ; triton_prefill_attention_aot.py:0:12
	v_mov_b32_e32 v168, 0
	.loc	1 130 12                        ; triton_prefill_attention_aot.py:130:12
	s_andn2_b64 vcc, exec, s[30:31]
	s_cbranch_vccz .LBB0_113
.LBB0_98:                               ;   in Loop: Header=BB0_40 Depth=1
	.loc	1 0 12                          ; triton_prefill_attention_aot.py:0:12
	v_mov_b32_e32 v169, 0
	.loc	1 130 12                        ; triton_prefill_attention_aot.py:130:12
	s_andn2_b64 vcc, exec, s[34:35]
	s_cbranch_vccz .LBB0_114
.LBB0_99:                               ;   in Loop: Header=BB0_40 Depth=1
	.loc	1 0 12                          ; triton_prefill_attention_aot.py:0:12
	v_mov_b32_e32 v170, 0
	.loc	1 130 12                        ; triton_prefill_attention_aot.py:130:12
	s_andn2_b64 vcc, exec, s[36:37]
	s_cbranch_vccz .LBB0_115
.LBB0_100:                              ;   in Loop: Header=BB0_40 Depth=1
	.loc	1 0 12                          ; triton_prefill_attention_aot.py:0:12
	v_mov_b32_e32 v171, 0
	.loc	1 130 12                        ; triton_prefill_attention_aot.py:130:12
	s_andn2_b64 vcc, exec, s[38:39]
	s_cbranch_vccz .LBB0_116
.LBB0_101:                              ;   in Loop: Header=BB0_40 Depth=1
	.loc	1 0 12                          ; triton_prefill_attention_aot.py:0:12
	v_mov_b32_e32 v172, 0
	.loc	1 130 12                        ; triton_prefill_attention_aot.py:130:12
	s_andn2_b64 vcc, exec, s[40:41]
	s_cbranch_vccz .LBB0_117
.LBB0_102:                              ;   in Loop: Header=BB0_40 Depth=1
	.loc	1 0 12                          ; triton_prefill_attention_aot.py:0:12
	v_mov_b32_e32 v173, 0
	.loc	1 130 12                        ; triton_prefill_attention_aot.py:130:12
	s_andn2_b64 vcc, exec, s[42:43]
	s_cbranch_vccz .LBB0_118
.LBB0_103:                              ;   in Loop: Header=BB0_40 Depth=1
	.loc	1 0 12                          ; triton_prefill_attention_aot.py:0:12
	v_mov_b32_e32 v174, 0
	.loc	1 130 12                        ; triton_prefill_attention_aot.py:130:12
	s_andn2_b64 vcc, exec, s[44:45]
	s_cbranch_vccz .LBB0_38
	s_branch .LBB0_119
.LBB0_104:                              ;   in Loop: Header=BB0_40 Depth=1
	.loc	1 0 12                          ; triton_prefill_attention_aot.py:0:12
	v_mov_b32_e32 v139, 0
	.loc	1 130 12                        ; triton_prefill_attention_aot.py:130:12
	s_andn2_b64 vcc, exec, s[10:11]
	s_cbranch_vccnz .LBB0_90
.LBB0_105:                              ;   in Loop: Header=BB0_40 Depth=1
	.loc	1 130 21                        ; triton_prefill_attention_aot.py:130:21
	v_lshl_add_u64 v[162:163], s[2:3], 1, v[82:83]
	.loc	1 130 12                        ; triton_prefill_attention_aot.py:130:12
	global_load_ushort v145, v[162:163], off
	s_andn2_b64 vcc, exec, s[12:13]
	s_cbranch_vccnz .LBB0_91
.LBB0_106:                              ;   in Loop: Header=BB0_40 Depth=1
	.loc	1 130 21                        ; triton_prefill_attention_aot.py:130:21
	v_lshl_add_u64 v[162:163], s[2:3], 1, v[84:85]
	.loc	1 130 12                        ; triton_prefill_attention_aot.py:130:12
	global_load_ushort v162, v[162:163], off
	s_andn2_b64 vcc, exec, s[18:19]
	s_cbranch_vccnz .LBB0_92
.LBB0_107:                              ;   in Loop: Header=BB0_40 Depth=1
	.loc	1 130 21                        ; triton_prefill_attention_aot.py:130:21
	v_lshl_add_u64 v[164:165], s[2:3], 1, v[86:87]
	.loc	1 130 12                        ; triton_prefill_attention_aot.py:130:12
	global_load_ushort v163, v[164:165], off
	s_andn2_b64 vcc, exec, s[20:21]
	s_cbranch_vccnz .LBB0_93
.LBB0_108:                              ;   in Loop: Header=BB0_40 Depth=1
	.loc	1 130 21                        ; triton_prefill_attention_aot.py:130:21
	v_lshl_add_u64 v[164:165], s[2:3], 1, v[88:89]
	.loc	1 130 12                        ; triton_prefill_attention_aot.py:130:12
	global_load_ushort v164, v[164:165], off
	s_andn2_b64 vcc, exec, s[22:23]
	s_cbranch_vccnz .LBB0_94
.LBB0_109:                              ;   in Loop: Header=BB0_40 Depth=1
	.loc	1 130 21                        ; triton_prefill_attention_aot.py:130:21
	v_lshl_add_u64 v[166:167], s[2:3], 1, v[90:91]
	.loc	1 130 12                        ; triton_prefill_attention_aot.py:130:12
	global_load_ushort v165, v[166:167], off
	s_andn2_b64 vcc, exec, s[24:25]
	s_cbranch_vccnz .LBB0_95
.LBB0_110:                              ;   in Loop: Header=BB0_40 Depth=1
	.loc	1 130 21                        ; triton_prefill_attention_aot.py:130:21
	v_lshl_add_u64 v[166:167], s[2:3], 1, v[92:93]
	.loc	1 130 12                        ; triton_prefill_attention_aot.py:130:12
	global_load_ushort v166, v[166:167], off
	s_andn2_b64 vcc, exec, s[26:27]
	s_cbranch_vccnz .LBB0_96
.LBB0_111:                              ;   in Loop: Header=BB0_40 Depth=1
	.loc	1 130 21                        ; triton_prefill_attention_aot.py:130:21
	v_lshl_add_u64 v[168:169], s[2:3], 1, v[94:95]
	.loc	1 130 12                        ; triton_prefill_attention_aot.py:130:12
	global_load_ushort v167, v[168:169], off
	s_andn2_b64 vcc, exec, s[28:29]
	s_cbranch_vccnz .LBB0_97
.LBB0_112:                              ;   in Loop: Header=BB0_40 Depth=1
	.loc	1 130 21                        ; triton_prefill_attention_aot.py:130:21
	v_lshl_add_u64 v[168:169], s[2:3], 1, v[96:97]
	.loc	1 130 12                        ; triton_prefill_attention_aot.py:130:12
	global_load_ushort v168, v[168:169], off
	s_andn2_b64 vcc, exec, s[30:31]
	s_cbranch_vccnz .LBB0_98
.LBB0_113:                              ;   in Loop: Header=BB0_40 Depth=1
	.loc	1 130 21                        ; triton_prefill_attention_aot.py:130:21
	v_lshl_add_u64 v[170:171], s[2:3], 1, v[98:99]
	.loc	1 130 12                        ; triton_prefill_attention_aot.py:130:12
	global_load_ushort v169, v[170:171], off
	s_andn2_b64 vcc, exec, s[34:35]
	s_cbranch_vccnz .LBB0_99
.LBB0_114:                              ;   in Loop: Header=BB0_40 Depth=1
	.loc	1 130 21                        ; triton_prefill_attention_aot.py:130:21
	v_lshl_add_u64 v[170:171], s[2:3], 1, v[100:101]
	.loc	1 130 12                        ; triton_prefill_attention_aot.py:130:12
	global_load_ushort v170, v[170:171], off
	s_andn2_b64 vcc, exec, s[36:37]
	s_cbranch_vccnz .LBB0_100
.LBB0_115:                              ;   in Loop: Header=BB0_40 Depth=1
	.loc	1 130 21                        ; triton_prefill_attention_aot.py:130:21
	v_lshl_add_u64 v[172:173], s[2:3], 1, v[102:103]
	.loc	1 130 12                        ; triton_prefill_attention_aot.py:130:12
	global_load_ushort v171, v[172:173], off
	s_andn2_b64 vcc, exec, s[38:39]
	s_cbranch_vccnz .LBB0_101
.LBB0_116:                              ;   in Loop: Header=BB0_40 Depth=1
	.loc	1 130 21                        ; triton_prefill_attention_aot.py:130:21
	v_lshl_add_u64 v[172:173], s[2:3], 1, v[104:105]
	.loc	1 130 12                        ; triton_prefill_attention_aot.py:130:12
	global_load_ushort v172, v[172:173], off
	s_andn2_b64 vcc, exec, s[40:41]
	s_cbranch_vccnz .LBB0_102
.LBB0_117:                              ;   in Loop: Header=BB0_40 Depth=1
	.loc	1 130 21                        ; triton_prefill_attention_aot.py:130:21
	v_lshl_add_u64 v[174:175], s[2:3], 1, v[106:107]
	.loc	1 130 12                        ; triton_prefill_attention_aot.py:130:12
	global_load_ushort v173, v[174:175], off
	s_andn2_b64 vcc, exec, s[42:43]
	s_cbranch_vccnz .LBB0_103
.LBB0_118:                              ;   in Loop: Header=BB0_40 Depth=1
	.loc	1 130 21                        ; triton_prefill_attention_aot.py:130:21
	v_lshl_add_u64 v[174:175], s[2:3], 1, v[108:109]
	.loc	1 130 12                        ; triton_prefill_attention_aot.py:130:12
	global_load_ushort v174, v[174:175], off
	s_andn2_b64 vcc, exec, s[44:45]
	s_cbranch_vccz .LBB0_38
.LBB0_119:                              ;   in Loop: Header=BB0_40 Depth=1
	.loc	1 0 12                          ; triton_prefill_attention_aot.py:0:12
	v_mov_b32_e32 v175, 0
	.loc	1 130 12                        ; triton_prefill_attention_aot.py:130:12
	s_branch .LBB0_39
.LBB0_120:                              ; %._crit_edge.loopexit
	.loc	1 0 12                          ; triton_prefill_attention_aot.py:0:12
	v_mov_b32_e32 v19, s51
.LBB0_121:                              ; %Flow201
	.loc	1 139 16 is_stmt 1              ; triton_prefill_attention_aot.py:139:16
	v_add_u32_e32 v0, 0, v114
	v_add_u32_e32 v1, v0, v19
	;; [unrolled: 1-line block ×3, first 2 shown]
	s_waitcnt lgkmcnt(0)
	s_barrier
	ds_write_b32 v1, v20
	s_waitcnt lgkmcnt(0)
	s_barrier
	ds_read_b32 v0, v0
	s_load_dwordx2 s[2:3], s[0:1], 0x50
	.loc	1 45 26                         ; triton_prefill_attention_aot.py:45:26
	s_lshr_b32 s4, s48, 2
	.loc	1 47 33                         ; triton_prefill_attention_aot.py:47:33
	v_or_b32_e32 v18, s4, v113
	v_or_b32_e32 v18, s33, v18
	.loc	1 139 16                        ; triton_prefill_attention_aot.py:139:16
	s_waitcnt lgkmcnt(0)
	v_div_scale_f32 v1, s[0:1], v0, v0, v2
	v_rcp_f32_e32 v19, v1
	.loc	1 60 32                         ; triton_prefill_attention_aot.py:60:32
	v_cmp_gt_i32_e64 s[0:1], s16, v18
	.loc	1 139 16                        ; triton_prefill_attention_aot.py:139:16
	v_fma_f32 v20, -v1, v19, 1.0
	v_fmac_f32_e32 v19, v20, v19
	v_div_scale_f32 v20, vcc, v2, v0, v2
	v_mul_f32_e32 v21, v20, v19
	v_fma_f32 v22, -v1, v21, v20
	v_fmac_f32_e32 v21, v22, v19
	v_fma_f32 v1, -v1, v21, v20
	v_div_scale_f32 v20, s[4:5], v0, v0, v3
	v_rcp_f32_e32 v22, v20
	v_div_fmas_f32 v1, v1, v19, v21
	v_div_fixup_f32 v1, v1, v0, v2
	v_fma_f32 v2, -v20, v22, 1.0
	v_fmac_f32_e32 v22, v2, v22
	v_div_scale_f32 v2, vcc, v3, v0, v3
	v_mul_f32_e32 v19, v2, v22
	v_fma_f32 v21, -v20, v19, v2
	v_fmac_f32_e32 v19, v21, v22
	v_fma_f32 v2, -v20, v19, v2
	v_div_scale_f32 v20, s[4:5], v0, v0, v4
	v_rcp_f32_e32 v21, v20
	v_div_fmas_f32 v2, v2, v22, v19
	v_div_fixup_f32 v2, v2, v0, v3
	;; [unrolled: 11-line block ×8, first 2 shown]
	.loc	1 147 18                        ; triton_prefill_attention_aot.py:147:18
	v_cvt_pk_f16_f32 v7, v7, v8
	.loc	1 139 16                        ; triton_prefill_attention_aot.py:139:16
	v_fma_f32 v9, -v20, v21, 1.0
	v_fmac_f32_e32 v21, v9, v21
	v_div_scale_f32 v9, vcc, v10, v0, v10
	v_mul_f32_e32 v19, v9, v21
	v_fma_f32 v22, -v20, v19, v9
	v_fmac_f32_e32 v19, v22, v21
	v_fma_f32 v9, -v20, v19, v9
	v_div_scale_f32 v20, s[4:5], v0, v0, v11
	v_rcp_f32_e32 v22, v20
	v_div_fmas_f32 v9, v9, v21, v19
	v_div_fixup_f32 v9, v9, v0, v10
	v_fma_f32 v10, -v20, v22, 1.0
	v_fmac_f32_e32 v22, v10, v22
	v_div_scale_f32 v10, vcc, v11, v0, v11
	v_mul_f32_e32 v19, v10, v22
	v_fma_f32 v21, -v20, v19, v10
	v_fmac_f32_e32 v19, v21, v22
	v_fma_f32 v10, -v20, v19, v10
	v_div_scale_f32 v20, s[4:5], v0, v0, v12
	v_rcp_f32_e32 v21, v20
	v_div_fmas_f32 v10, v10, v22, v19
	v_div_fixup_f32 v10, v10, v0, v11
	;; [unrolled: 11-line block ×7, first 2 shown]
	v_fma_f32 v16, -v20, v22, 1.0
	v_fmac_f32_e32 v22, v16, v22
	v_div_scale_f32 v16, vcc, v17, v0, v17
	v_mul_f32_e32 v19, v16, v22
	v_fma_f32 v21, -v20, v19, v16
	v_fmac_f32_e32 v19, v21, v22
	v_fma_f32 v16, -v20, v19, v16
	v_div_fmas_f32 v16, v16, v22, v19
	v_div_fixup_f32 v16, v16, v0, v17
	.loc	1 147 18                        ; triton_prefill_attention_aot.py:147:18
	v_cvt_pk_f16_f32 v0, v1, v2
	v_cvt_pk_f16_f32 v1, v3, v4
	;; [unrolled: 1-line block ×7, first 2 shown]
	v_permlane32_swap_b32_e32 v0, v2
	v_permlane32_swap_b32_e32 v1, v7
	;; [unrolled: 1-line block ×4, first 2 shown]
	s_and_saveexec_b64 s[4:5], s[0:1]
	s_cbranch_execz .LBB0_123
; %bb.122:                              ; %.critedge
	.loc	1 45 26                         ; triton_prefill_attention_aot.py:45:26
	v_lshrrev_b32_e32 v8, 2, v112
	s_lshr_b32 s0, s46, 1
	.loc	1 49 40                         ; triton_prefill_attention_aot.py:49:40
	v_add_u32_e32 v9, s9, v18
	.loc	1 45 26                         ; triton_prefill_attention_aot.py:45:26
	v_or_b32_e32 v8, s0, v8
	.loc	1 141 59                        ; triton_prefill_attention_aot.py:141:59
	v_mul_lo_u32 v9, v9, s2
	.loc	1 142 21                        ; triton_prefill_attention_aot.py:142:21
	s_mul_i32 s0, s3, s17
	.loc	1 143 10                        ; triton_prefill_attention_aot.py:143:10
	v_add3_u32 v28, v9, s0, v8
	v_add_u32_e32 v8, 23, v28
	v_add_u32_e32 v10, 22, v28
	;; [unrolled: 1-line block ×11, first 2 shown]
	.loc	1 145 21                        ; triton_prefill_attention_aot.py:145:21
	v_ashrrev_i32_e32 v29, 31, v28
	v_ashrrev_i32_e32 v9, 31, v8
	;; [unrolled: 1-line block ×11, first 2 shown]
	v_lshl_add_u64 v[28:29], v[28:29], 1, s[14:15]
	v_lshl_add_u64 v[8:9], v[8:9], 1, s[14:15]
	;; [unrolled: 1-line block ×11, first 2 shown]
	.loc	1 147 18                        ; triton_prefill_attention_aot.py:147:18
	global_store_dwordx3 v[28:29], v[0:2], off offset:-10
	global_store_short v[26:27], v7, off
	global_store_short_d16_hi v[24:25], v7, off
	global_store_short v[22:23], v6, off
	global_store_short_d16_hi v[20:21], v6, off
	;; [unrolled: 2-line block ×5, first 2 shown]
.LBB0_123:                              ; %.critedge28
	.loc	1 146 4                         ; triton_prefill_attention_aot.py:146:4
	s_endpgm
.Ltmp93:
	.section	.rodata,"a",@progbits
	.p2align	6, 0x0
	.amdhsa_kernel _fwd_kernel
		.amdhsa_group_segment_fixed_size 0
		.amdhsa_private_segment_fixed_size 0
		.amdhsa_kernarg_size 104
		.amdhsa_user_sgpr_count 16
		.amdhsa_user_sgpr_dispatch_ptr 0
		.amdhsa_user_sgpr_queue_ptr 0
		.amdhsa_user_sgpr_kernarg_segment_ptr 1
		.amdhsa_user_sgpr_dispatch_id 0
		.amdhsa_user_sgpr_kernarg_preload_length 14
		.amdhsa_user_sgpr_kernarg_preload_offset 0
		.amdhsa_user_sgpr_private_segment_size 0
		.amdhsa_uses_dynamic_stack 0
		.amdhsa_enable_private_segment 0
		.amdhsa_system_sgpr_workgroup_id_x 1
		.amdhsa_system_sgpr_workgroup_id_y 1
		.amdhsa_system_sgpr_workgroup_id_z 1
		.amdhsa_system_sgpr_workgroup_info 0
		.amdhsa_system_vgpr_workitem_id 0
		.amdhsa_next_free_vgpr 192
		.amdhsa_next_free_sgpr 54
		.amdhsa_accum_offset 192
		.amdhsa_reserve_vcc 1
		.amdhsa_reserve_xnack_mask 1
		.amdhsa_float_round_mode_32 0
		.amdhsa_float_round_mode_16_64 0
		.amdhsa_float_denorm_mode_32 3
		.amdhsa_float_denorm_mode_16_64 3
		.amdhsa_dx10_clamp 1
		.amdhsa_ieee_mode 1
		.amdhsa_fp16_overflow 0
		.amdhsa_tg_split 0
		.amdhsa_exception_fp_ieee_invalid_op 0
		.amdhsa_exception_fp_denorm_src 0
		.amdhsa_exception_fp_ieee_div_zero 0
		.amdhsa_exception_fp_ieee_overflow 0
		.amdhsa_exception_fp_ieee_underflow 0
		.amdhsa_exception_fp_ieee_inexact 0
		.amdhsa_exception_int_div_zero 0
	.end_amdhsa_kernel
	.text
.Lfunc_end0:
	.size	_fwd_kernel, .Lfunc_end0-_fwd_kernel
	.cfi_endproc
                                        ; -- End function
	.set _fwd_kernel.num_vgpr, 192
	.set _fwd_kernel.num_agpr, 0
	.set _fwd_kernel.numbered_sgpr, 54
	.set _fwd_kernel.num_named_barrier, 0
	.set _fwd_kernel.private_seg_size, 0
	.set _fwd_kernel.uses_vcc, 1
	.set _fwd_kernel.uses_flat_scratch, 0
	.set _fwd_kernel.has_dyn_sized_stack, 0
	.set _fwd_kernel.has_recursion, 0
	.set _fwd_kernel.has_indirect_call, 0
	.section	.AMDGPU.csdata,"",@progbits
; Kernel info:
; codeLenInByte = 8024
; TotalNumSgprs: 60
; NumVgprs: 192
; NumAgprs: 0
; TotalNumVgprs: 192
; ScratchSize: 0
; MemoryBound: 0
; FloatMode: 240
; IeeeMode: 1
; LDSByteSize: 0 bytes/workgroup (compile time only)
; SGPRBlocks: 7
; VGPRBlocks: 23
; NumSGPRsForWavesPerEU: 60
; NumVGPRsForWavesPerEU: 192
; AccumOffset: 192
; Occupancy: 2
; WaveLimiterHint : 1
; COMPUTE_PGM_RSRC2:SCRATCH_EN: 0
; COMPUTE_PGM_RSRC2:USER_SGPR: 16
; COMPUTE_PGM_RSRC2:TRAP_HANDLER: 0
; COMPUTE_PGM_RSRC2:TGID_X_EN: 1
; COMPUTE_PGM_RSRC2:TGID_Y_EN: 1
; COMPUTE_PGM_RSRC2:TGID_Z_EN: 1
; COMPUTE_PGM_RSRC2:TIDIG_COMP_CNT: 0
; COMPUTE_PGM_RSRC3_GFX90A:ACCUM_OFFSET: 47
; COMPUTE_PGM_RSRC3_GFX90A:TG_SPLIT: 0
	.text
	.p2alignl 6, 3212836864
	.fill 256, 4, 3212836864
	.section	.AMDGPU.gpr_maximums,"",@progbits
	.set amdgpu.max_num_vgpr, 0
	.set amdgpu.max_num_agpr, 0
	.set amdgpu.max_num_sgpr, 0
	.set amdgpu.max_num_named_barrier, 0
	.text
	.section	.debug_abbrev,"",@progbits
	.byte	1                               ; Abbreviation Code
	.byte	17                              ; DW_TAG_compile_unit
	.byte	1                               ; DW_CHILDREN_yes
	.byte	37                              ; DW_AT_producer
	.byte	14                              ; DW_FORM_strp
	.byte	19                              ; DW_AT_language
	.byte	5                               ; DW_FORM_data2
	.byte	3                               ; DW_AT_name
	.byte	14                              ; DW_FORM_strp
	.byte	16                              ; DW_AT_stmt_list
	.byte	23                              ; DW_FORM_sec_offset
	.byte	27                              ; DW_AT_comp_dir
	.byte	14                              ; DW_FORM_strp
	.byte	17                              ; DW_AT_low_pc
	.byte	1                               ; DW_FORM_addr
	.byte	18                              ; DW_AT_high_pc
	.byte	6                               ; DW_FORM_data4
	.byte	0                               ; EOM(1)
	.byte	0                               ; EOM(2)
	.byte	2                               ; Abbreviation Code
	.byte	46                              ; DW_TAG_subprogram
	.byte	0                               ; DW_CHILDREN_no
	.byte	3                               ; DW_AT_name
	.byte	14                              ; DW_FORM_strp
	.byte	32                              ; DW_AT_inline
	.byte	11                              ; DW_FORM_data1
	.byte	0                               ; EOM(1)
	.byte	0                               ; EOM(2)
	.byte	3                               ; Abbreviation Code
	.byte	46                              ; DW_TAG_subprogram
	.byte	1                               ; DW_CHILDREN_yes
	.byte	17                              ; DW_AT_low_pc
	.byte	1                               ; DW_FORM_addr
	.byte	18                              ; DW_AT_high_pc
	.byte	6                               ; DW_FORM_data4
	.byte	49                              ; DW_AT_abstract_origin
	.byte	19                              ; DW_FORM_ref4
	.byte	0                               ; EOM(1)
	.byte	0                               ; EOM(2)
	.byte	4                               ; Abbreviation Code
	.byte	29                              ; DW_TAG_inlined_subroutine
	.byte	1                               ; DW_CHILDREN_yes
	.byte	49                              ; DW_AT_abstract_origin
	.byte	19                              ; DW_FORM_ref4
	.byte	85                              ; DW_AT_ranges
	.byte	23                              ; DW_FORM_sec_offset
	.byte	88                              ; DW_AT_call_file
	.byte	11                              ; DW_FORM_data1
	.byte	89                              ; DW_AT_call_line
	.byte	11                              ; DW_FORM_data1
	.byte	87                              ; DW_AT_call_column
	.byte	11                              ; DW_FORM_data1
	.byte	0                               ; EOM(1)
	.byte	0                               ; EOM(2)
	.byte	5                               ; Abbreviation Code
	.byte	29                              ; DW_TAG_inlined_subroutine
	.byte	0                               ; DW_CHILDREN_no
	.byte	49                              ; DW_AT_abstract_origin
	.byte	19                              ; DW_FORM_ref4
	.byte	85                              ; DW_AT_ranges
	.byte	23                              ; DW_FORM_sec_offset
	.byte	88                              ; DW_AT_call_file
	.byte	11                              ; DW_FORM_data1
	.byte	89                              ; DW_AT_call_line
	.byte	5                               ; DW_FORM_data2
	.byte	87                              ; DW_AT_call_column
	.byte	11                              ; DW_FORM_data1
	.byte	0                               ; EOM(1)
	.byte	0                               ; EOM(2)
	.byte	6                               ; Abbreviation Code
	.byte	29                              ; DW_TAG_inlined_subroutine
	.byte	0                               ; DW_CHILDREN_no
	.byte	49                              ; DW_AT_abstract_origin
	.byte	19                              ; DW_FORM_ref4
	.byte	85                              ; DW_AT_ranges
	.byte	23                              ; DW_FORM_sec_offset
	.byte	88                              ; DW_AT_call_file
	.byte	11                              ; DW_FORM_data1
	.byte	89                              ; DW_AT_call_line
	.byte	11                              ; DW_FORM_data1
	.byte	87                              ; DW_AT_call_column
	.byte	11                              ; DW_FORM_data1
	.byte	0                               ; EOM(1)
	.byte	0                               ; EOM(2)
	;; [unrolled: 1-line block ×3, first 2 shown]
	.section	.debug_info,"",@progbits
.Lcu_begin0:
	.long	.Ldebug_info_end0-.Ldebug_info_start0 ; Length of Unit
.Ldebug_info_start0:
	.short	4                               ; DWARF version number
	.long	.debug_abbrev                   ; Offset Into Abbrev. Section
	.byte	8                               ; Address Size (in bytes)
	.byte	1                               ; Abbrev [1] 0xb:0x6b DW_TAG_compile_unit
	.long	.Linfo_string0                  ; DW_AT_producer
	.short	2                               ; DW_AT_language
	.long	.Linfo_string1                  ; DW_AT_name
	.long	.Lline_table_start0             ; DW_AT_stmt_list
	.long	.Linfo_string2                  ; DW_AT_comp_dir
	.quad	.Lfunc_begin0                   ; DW_AT_low_pc
	.long	.Lfunc_end0-.Lfunc_begin0       ; DW_AT_high_pc
	.byte	2                               ; Abbrev [2] 0x2a:0x6 DW_TAG_subprogram
	.long	.Linfo_string3                  ; DW_AT_name
	.byte	1                               ; DW_AT_inline
	.byte	3                               ; Abbrev [3] 0x30:0x45 DW_TAG_subprogram
	.quad	.Lfunc_begin0                   ; DW_AT_low_pc
	.long	.Lfunc_end0-.Lfunc_begin0       ; DW_AT_high_pc
	.long	42                              ; DW_AT_abstract_origin
	.byte	4                               ; Abbrev [4] 0x41:0x1a DW_TAG_inlined_subroutine
	.long	42                              ; DW_AT_abstract_origin
	.long	.Ldebug_ranges0                 ; DW_AT_ranges
	.byte	1                               ; DW_AT_call_file
	.byte	121                             ; DW_AT_call_line
	.byte	25                              ; DW_AT_call_column
	.byte	5                               ; Abbrev [5] 0x4d:0xd DW_TAG_inlined_subroutine
	.long	42                              ; DW_AT_abstract_origin
	.long	.Ldebug_ranges1                 ; DW_AT_ranges
	.byte	2                               ; DW_AT_call_file
	.short	293                             ; DW_AT_call_line
	.byte	36                              ; DW_AT_call_column
	.byte	0                               ; End Of Children Mark
	.byte	4                               ; Abbrev [4] 0x5b:0x19 DW_TAG_inlined_subroutine
	.long	42                              ; DW_AT_abstract_origin
	.long	.Ldebug_ranges2                 ; DW_AT_ranges
	.byte	1                               ; DW_AT_call_file
	.byte	118                             ; DW_AT_call_line
	.byte	42                              ; DW_AT_call_column
	.byte	6                               ; Abbrev [6] 0x67:0xc DW_TAG_inlined_subroutine
	.long	42                              ; DW_AT_abstract_origin
	.long	.Ldebug_ranges3                 ; DW_AT_ranges
	.byte	2                               ; DW_AT_call_file
	.byte	191                             ; DW_AT_call_line
	.byte	40                              ; DW_AT_call_column
	.byte	0                               ; End Of Children Mark
	.byte	0                               ; End Of Children Mark
	;; [unrolled: 1-line block ×3, first 2 shown]
.Ldebug_info_end0:
	.section	.debug_ranges,"",@progbits
.Ldebug_ranges0:
	.quad	.Ltmp2-.Lfunc_begin0
	.quad	.Ltmp3-.Lfunc_begin0
	;; [unrolled: 1-line block ×58, first 2 shown]
	.quad	0
	.quad	0
.Ldebug_ranges1:
	.quad	.Ltmp2-.Lfunc_begin0
	.quad	.Ltmp3-.Lfunc_begin0
	;; [unrolled: 1-line block ×56, first 2 shown]
	.quad	0
	.quad	0
.Ldebug_ranges2:
	.quad	.Ltmp4-.Lfunc_begin0
	.quad	.Ltmp5-.Lfunc_begin0
	;; [unrolled: 1-line block ×32, first 2 shown]
	.quad	0
	.quad	0
.Ldebug_ranges3:
	.quad	.Ltmp4-.Lfunc_begin0
	.quad	.Ltmp5-.Lfunc_begin0
	;; [unrolled: 1-line block ×32, first 2 shown]
	.quad	0
	.quad	0
	.section	.debug_str,"MS",@progbits,1
.Linfo_string0:
	.asciz	"triton"                        ; string offset=0
.Linfo_string1:
	.asciz	"triton_prefill_attention_aot.py" ; string offset=7
.Linfo_string2:
	.asciz	"/root/src/amdgpu-assembly/repos/vllm-project__vllm/triton_aot_kernels" ; string offset=39
.Linfo_string3:
	.asciz	"_fwd_kernel"                   ; string offset=109
	.section	".note.GNU-stack","",@progbits
	.amdgpu_metadata
---
amdhsa.kernels:
  - .agpr_count:     0
    .args:
      - .address_space:  global
        .offset:         0
        .size:           8
        .value_kind:     global_buffer
      - .address_space:  global
        .offset:         8
        .size:           8
        .value_kind:     global_buffer
      - .address_space:  global
        .offset:         16
        .size:           8
        .value_kind:     global_buffer
      - .offset:         24
        .size:           4
        .value_kind:     by_value
      - .address_space:  global
        .offset:         32
        .size:           8
        .value_kind:     global_buffer
      - .address_space:  global
        .offset:         40
        .size:           8
        .value_kind:     global_buffer
      - .address_space:  global
        .offset:         48
        .size:           8
        .value_kind:     global_buffer
      - .offset:         56
        .size:           4
        .value_kind:     by_value
      - .offset:         60
        .size:           4
        .value_kind:     by_value
      - .offset:         64
        .size:           4
        .value_kind:     by_value
      - .offset:         68
        .size:           4
        .value_kind:     by_value
      - .offset:         72
        .size:           4
        .value_kind:     by_value
      - .offset:         76
        .size:           4
        .value_kind:     by_value
      - .offset:         80
        .size:           4
        .value_kind:     by_value
      - .offset:         84
        .size:           4
        .value_kind:     by_value
      - .address_space:  global
        .offset:         88
        .size:           8
        .value_kind:     global_buffer
      - .address_space:  global
        .offset:         96
        .size:           8
        .value_kind:     global_buffer
    .group_segment_fixed_size: 0
    .kernarg_segment_align: 8
    .kernarg_segment_size: 104
    .max_flat_workgroup_size: 256
    .name:           _fwd_kernel
    .private_segment_fixed_size: 0
    .sgpr_count:     60
    .sgpr_spill_count: 0
    .symbol:         _fwd_kernel.kd
    .uniform_work_group_size: 1
    .uses_dynamic_stack: false
    .vgpr_count:     192
    .vgpr_spill_count: 0
    .wavefront_size: 64
amdhsa.target:   amdgcn-amd-amdhsa--gfx950
amdhsa.version:
  - 1
  - 2
...

	.end_amdgpu_metadata
	.section	.debug_line,"",@progbits
.Lline_table_start0:
